;; amdgpu-corpus repo=ROCm/rocFFT kind=compiled arch=gfx1030 opt=O3
	.text
	.amdgcn_target "amdgcn-amd-amdhsa--gfx1030"
	.amdhsa_code_object_version 6
	.protected	fft_rtc_back_len4050_factors_10_5_3_3_3_3_wgs_135_tpt_135_halfLds_half_ip_CI_unitstride_sbrr_dirReg ; -- Begin function fft_rtc_back_len4050_factors_10_5_3_3_3_3_wgs_135_tpt_135_halfLds_half_ip_CI_unitstride_sbrr_dirReg
	.globl	fft_rtc_back_len4050_factors_10_5_3_3_3_3_wgs_135_tpt_135_halfLds_half_ip_CI_unitstride_sbrr_dirReg
	.p2align	8
	.type	fft_rtc_back_len4050_factors_10_5_3_3_3_3_wgs_135_tpt_135_halfLds_half_ip_CI_unitstride_sbrr_dirReg,@function
fft_rtc_back_len4050_factors_10_5_3_3_3_3_wgs_135_tpt_135_halfLds_half_ip_CI_unitstride_sbrr_dirReg: ; @fft_rtc_back_len4050_factors_10_5_3_3_3_3_wgs_135_tpt_135_halfLds_half_ip_CI_unitstride_sbrr_dirReg
; %bb.0:
	s_clause 0x2
	s_load_dwordx4 s[8:11], s[4:5], 0x0
	s_load_dwordx2 s[2:3], s[4:5], 0x50
	s_load_dwordx2 s[12:13], s[4:5], 0x18
	v_mul_u32_u24_e32 v1, 0x1e6, v0
	v_mov_b32_e32 v3, 0
	v_add_nc_u32_sdwa v5, s6, v1 dst_sel:DWORD dst_unused:UNUSED_PAD src0_sel:DWORD src1_sel:WORD_1
	v_mov_b32_e32 v1, 0
	v_mov_b32_e32 v6, v3
	v_mov_b32_e32 v2, 0
	s_waitcnt lgkmcnt(0)
	v_cmp_lt_u64_e64 s0, s[10:11], 2
	s_and_b32 vcc_lo, exec_lo, s0
	s_cbranch_vccnz .LBB0_8
; %bb.1:
	s_load_dwordx2 s[0:1], s[4:5], 0x10
	v_mov_b32_e32 v1, 0
	s_add_u32 s6, s12, 8
	v_mov_b32_e32 v2, 0
	s_addc_u32 s7, s13, 0
	s_mov_b64 s[16:17], 1
	s_waitcnt lgkmcnt(0)
	s_add_u32 s14, s0, 8
	s_addc_u32 s15, s1, 0
.LBB0_2:                                ; =>This Inner Loop Header: Depth=1
	s_load_dwordx2 s[18:19], s[14:15], 0x0
                                        ; implicit-def: $vgpr7_vgpr8
	s_mov_b32 s0, exec_lo
	s_waitcnt lgkmcnt(0)
	v_or_b32_e32 v4, s19, v6
	v_cmpx_ne_u64_e32 0, v[3:4]
	s_xor_b32 s1, exec_lo, s0
	s_cbranch_execz .LBB0_4
; %bb.3:                                ;   in Loop: Header=BB0_2 Depth=1
	v_cvt_f32_u32_e32 v4, s18
	v_cvt_f32_u32_e32 v7, s19
	s_sub_u32 s0, 0, s18
	s_subb_u32 s20, 0, s19
	v_fmac_f32_e32 v4, 0x4f800000, v7
	v_rcp_f32_e32 v4, v4
	v_mul_f32_e32 v4, 0x5f7ffffc, v4
	v_mul_f32_e32 v7, 0x2f800000, v4
	v_trunc_f32_e32 v7, v7
	v_fmac_f32_e32 v4, 0xcf800000, v7
	v_cvt_u32_f32_e32 v7, v7
	v_cvt_u32_f32_e32 v4, v4
	v_mul_lo_u32 v8, s0, v7
	v_mul_hi_u32 v9, s0, v4
	v_mul_lo_u32 v10, s20, v4
	v_add_nc_u32_e32 v8, v9, v8
	v_mul_lo_u32 v9, s0, v4
	v_add_nc_u32_e32 v8, v8, v10
	v_mul_hi_u32 v10, v4, v9
	v_mul_lo_u32 v11, v4, v8
	v_mul_hi_u32 v12, v4, v8
	v_mul_hi_u32 v13, v7, v9
	v_mul_lo_u32 v9, v7, v9
	v_mul_hi_u32 v14, v7, v8
	v_mul_lo_u32 v8, v7, v8
	v_add_co_u32 v10, vcc_lo, v10, v11
	v_add_co_ci_u32_e32 v11, vcc_lo, 0, v12, vcc_lo
	v_add_co_u32 v9, vcc_lo, v10, v9
	v_add_co_ci_u32_e32 v9, vcc_lo, v11, v13, vcc_lo
	v_add_co_ci_u32_e32 v10, vcc_lo, 0, v14, vcc_lo
	v_add_co_u32 v8, vcc_lo, v9, v8
	v_add_co_ci_u32_e32 v9, vcc_lo, 0, v10, vcc_lo
	v_add_co_u32 v4, vcc_lo, v4, v8
	v_add_co_ci_u32_e32 v7, vcc_lo, v7, v9, vcc_lo
	v_mul_hi_u32 v8, s0, v4
	v_mul_lo_u32 v10, s20, v4
	v_mul_lo_u32 v9, s0, v7
	v_add_nc_u32_e32 v8, v8, v9
	v_mul_lo_u32 v9, s0, v4
	v_add_nc_u32_e32 v8, v8, v10
	v_mul_hi_u32 v10, v4, v9
	v_mul_lo_u32 v11, v4, v8
	v_mul_hi_u32 v12, v4, v8
	v_mul_hi_u32 v13, v7, v9
	v_mul_lo_u32 v9, v7, v9
	v_mul_hi_u32 v14, v7, v8
	v_mul_lo_u32 v8, v7, v8
	v_add_co_u32 v10, vcc_lo, v10, v11
	v_add_co_ci_u32_e32 v11, vcc_lo, 0, v12, vcc_lo
	v_add_co_u32 v9, vcc_lo, v10, v9
	v_add_co_ci_u32_e32 v9, vcc_lo, v11, v13, vcc_lo
	v_add_co_ci_u32_e32 v10, vcc_lo, 0, v14, vcc_lo
	v_add_co_u32 v8, vcc_lo, v9, v8
	v_add_co_ci_u32_e32 v9, vcc_lo, 0, v10, vcc_lo
	v_add_co_u32 v4, vcc_lo, v4, v8
	v_add_co_ci_u32_e32 v11, vcc_lo, v7, v9, vcc_lo
	v_mul_hi_u32 v13, v5, v4
	v_mad_u64_u32 v[9:10], null, v6, v4, 0
	v_mad_u64_u32 v[7:8], null, v5, v11, 0
	;; [unrolled: 1-line block ×3, first 2 shown]
	v_add_co_u32 v4, vcc_lo, v13, v7
	v_add_co_ci_u32_e32 v7, vcc_lo, 0, v8, vcc_lo
	v_add_co_u32 v4, vcc_lo, v4, v9
	v_add_co_ci_u32_e32 v4, vcc_lo, v7, v10, vcc_lo
	v_add_co_ci_u32_e32 v7, vcc_lo, 0, v12, vcc_lo
	v_add_co_u32 v4, vcc_lo, v4, v11
	v_add_co_ci_u32_e32 v9, vcc_lo, 0, v7, vcc_lo
	v_mul_lo_u32 v10, s19, v4
	v_mad_u64_u32 v[7:8], null, s18, v4, 0
	v_mul_lo_u32 v11, s18, v9
	v_sub_co_u32 v7, vcc_lo, v5, v7
	v_add3_u32 v8, v8, v11, v10
	v_sub_nc_u32_e32 v10, v6, v8
	v_subrev_co_ci_u32_e64 v10, s0, s19, v10, vcc_lo
	v_add_co_u32 v11, s0, v4, 2
	v_add_co_ci_u32_e64 v12, s0, 0, v9, s0
	v_sub_co_u32 v13, s0, v7, s18
	v_sub_co_ci_u32_e32 v8, vcc_lo, v6, v8, vcc_lo
	v_subrev_co_ci_u32_e64 v10, s0, 0, v10, s0
	v_cmp_le_u32_e32 vcc_lo, s18, v13
	v_cmp_eq_u32_e64 s0, s19, v8
	v_cndmask_b32_e64 v13, 0, -1, vcc_lo
	v_cmp_le_u32_e32 vcc_lo, s19, v10
	v_cndmask_b32_e64 v14, 0, -1, vcc_lo
	v_cmp_le_u32_e32 vcc_lo, s18, v7
	;; [unrolled: 2-line block ×3, first 2 shown]
	v_cndmask_b32_e64 v15, 0, -1, vcc_lo
	v_cmp_eq_u32_e32 vcc_lo, s19, v10
	v_cndmask_b32_e64 v7, v15, v7, s0
	v_cndmask_b32_e32 v10, v14, v13, vcc_lo
	v_add_co_u32 v13, vcc_lo, v4, 1
	v_add_co_ci_u32_e32 v14, vcc_lo, 0, v9, vcc_lo
	v_cmp_ne_u32_e32 vcc_lo, 0, v10
	v_cndmask_b32_e32 v8, v14, v12, vcc_lo
	v_cndmask_b32_e32 v10, v13, v11, vcc_lo
	v_cmp_ne_u32_e32 vcc_lo, 0, v7
	v_cndmask_b32_e32 v8, v9, v8, vcc_lo
	v_cndmask_b32_e32 v7, v4, v10, vcc_lo
.LBB0_4:                                ;   in Loop: Header=BB0_2 Depth=1
	s_andn2_saveexec_b32 s0, s1
	s_cbranch_execz .LBB0_6
; %bb.5:                                ;   in Loop: Header=BB0_2 Depth=1
	v_cvt_f32_u32_e32 v4, s18
	s_sub_i32 s1, 0, s18
	v_rcp_iflag_f32_e32 v4, v4
	v_mul_f32_e32 v4, 0x4f7ffffe, v4
	v_cvt_u32_f32_e32 v4, v4
	v_mul_lo_u32 v7, s1, v4
	v_mul_hi_u32 v7, v4, v7
	v_add_nc_u32_e32 v4, v4, v7
	v_mul_hi_u32 v4, v5, v4
	v_mul_lo_u32 v7, v4, s18
	v_add_nc_u32_e32 v8, 1, v4
	v_sub_nc_u32_e32 v7, v5, v7
	v_subrev_nc_u32_e32 v9, s18, v7
	v_cmp_le_u32_e32 vcc_lo, s18, v7
	v_cndmask_b32_e32 v7, v7, v9, vcc_lo
	v_cndmask_b32_e32 v4, v4, v8, vcc_lo
	v_cmp_le_u32_e32 vcc_lo, s18, v7
	v_add_nc_u32_e32 v8, 1, v4
	v_cndmask_b32_e32 v7, v4, v8, vcc_lo
	v_mov_b32_e32 v8, v3
.LBB0_6:                                ;   in Loop: Header=BB0_2 Depth=1
	s_or_b32 exec_lo, exec_lo, s0
	s_load_dwordx2 s[0:1], s[6:7], 0x0
	v_mul_lo_u32 v4, v8, s18
	v_mul_lo_u32 v11, v7, s19
	v_mad_u64_u32 v[9:10], null, v7, s18, 0
	s_add_u32 s16, s16, 1
	s_addc_u32 s17, s17, 0
	s_add_u32 s6, s6, 8
	s_addc_u32 s7, s7, 0
	;; [unrolled: 2-line block ×3, first 2 shown]
	v_add3_u32 v4, v10, v11, v4
	v_sub_co_u32 v5, vcc_lo, v5, v9
	v_sub_co_ci_u32_e32 v4, vcc_lo, v6, v4, vcc_lo
	s_waitcnt lgkmcnt(0)
	v_mul_lo_u32 v6, s1, v5
	v_mul_lo_u32 v4, s0, v4
	v_mad_u64_u32 v[1:2], null, s0, v5, v[1:2]
	v_cmp_ge_u64_e64 s0, s[16:17], s[10:11]
	s_and_b32 vcc_lo, exec_lo, s0
	v_add3_u32 v2, v6, v2, v4
	s_cbranch_vccnz .LBB0_9
; %bb.7:                                ;   in Loop: Header=BB0_2 Depth=1
	v_mov_b32_e32 v5, v7
	v_mov_b32_e32 v6, v8
	s_branch .LBB0_2
.LBB0_8:
	v_mov_b32_e32 v8, v6
	v_mov_b32_e32 v7, v5
.LBB0_9:
	s_lshl_b64 s[0:1], s[10:11], 3
	v_mul_hi_u32 v5, 0x1e573ad, v0
	s_add_u32 s0, s12, s0
	s_addc_u32 s1, s13, s1
                                        ; implicit-def: $vgpr48
                                        ; implicit-def: $vgpr11
                                        ; implicit-def: $vgpr9
                                        ; implicit-def: $vgpr49
                                        ; implicit-def: $vgpr12
                                        ; implicit-def: $vgpr10
                                        ; implicit-def: $vgpr50
                                        ; implicit-def: $vgpr13
                                        ; implicit-def: $vgpr52
                                        ; implicit-def: $vgpr51
                                        ; implicit-def: $vgpr14
                                        ; implicit-def: $vgpr6
                                        ; implicit-def: $vgpr29
                                        ; implicit-def: $vgpr20
                                        ; implicit-def: $vgpr54
                                        ; implicit-def: $vgpr28
                                        ; implicit-def: $vgpr18
                                        ; implicit-def: $vgpr23
                                        ; implicit-def: $vgpr55
                                        ; implicit-def: $vgpr31
                                        ; implicit-def: $vgpr17
                                        ; implicit-def: $vgpr25
                                        ; implicit-def: $vgpr58
                                        ; implicit-def: $vgpr32
                                        ; implicit-def: $vgpr15
                                        ; implicit-def: $vgpr60
                                        ; implicit-def: $vgpr59
                                        ; implicit-def: $vgpr33
                                        ; implicit-def: $vgpr16
                                        ; implicit-def: $vgpr21
                                        ; implicit-def: $vgpr19
                                        ; implicit-def: $vgpr34
                                        ; implicit-def: $vgpr41
                                        ; implicit-def: $vgpr73
                                        ; implicit-def: $vgpr43
                                        ; implicit-def: $vgpr38
                                        ; implicit-def: $vgpr42
                                        ; implicit-def: $vgpr64
                                        ; implicit-def: $vgpr44
                                        ; implicit-def: $vgpr39
                                        ; implicit-def: $vgpr45
                                        ; implicit-def: $vgpr74
                                        ; implicit-def: $vgpr46
                                        ; implicit-def: $vgpr36
                                        ; implicit-def: $vgpr75
                                        ; implicit-def: $vgpr61
                                        ; implicit-def: $vgpr47
                                        ; implicit-def: $vgpr30
                                        ; implicit-def: $vgpr40
                                        ; implicit-def: $vgpr22
                                        ; implicit-def: $vgpr35
                                        ; implicit-def: $vgpr37
	s_load_dwordx2 s[0:1], s[0:1], 0x0
	s_load_dwordx2 s[4:5], s[4:5], 0x20
	s_waitcnt lgkmcnt(0)
	v_mul_lo_u32 v3, s0, v8
	v_mul_lo_u32 v4, s1, v7
	v_mad_u64_u32 v[1:2], null, s0, v7, v[1:2]
	v_cmp_gt_u64_e32 vcc_lo, s[4:5], v[7:8]
                                        ; implicit-def: $vgpr8
                                        ; implicit-def: $vgpr7
	v_add3_u32 v2, v4, v2, v3
	v_mul_u32_u24_e32 v3, 0x87, v5
                                        ; implicit-def: $vgpr5
                                        ; implicit-def: $vgpr4
	v_lshlrev_b64 v[26:27], 2, v[1:2]
	v_sub_nc_u32_e32 v24, v0, v3
                                        ; implicit-def: $vgpr1
                                        ; implicit-def: $vgpr0
                                        ; implicit-def: $vgpr3
                                        ; implicit-def: $vgpr2
	s_and_saveexec_b32 s1, vcc_lo
	s_cbranch_execz .LBB0_11
; %bb.10:
	v_mov_b32_e32 v25, 0
	v_add_co_u32 v2, s0, s2, v26
	v_add_co_ci_u32_e64 v4, s0, s3, v27, s0
	v_lshlrev_b64 v[0:1], 2, v[24:25]
	v_add_co_u32 v3, s0, v2, v0
	v_add_co_ci_u32_e64 v4, s0, v4, v1, s0
	v_add_co_u32 v0, s0, 0x800, v3
	v_add_co_ci_u32_e64 v1, s0, 0, v4, s0
	;; [unrolled: 2-line block ×8, first 2 shown]
	s_clause 0x1d
	global_load_dword v22, v[3:4], off offset:1620
	global_load_dword v30, v[0:1], off offset:1192
	;; [unrolled: 1-line block ×4, first 2 shown]
	global_load_dword v37, v[3:4], off
	global_load_dword v34, v[3:4], off offset:540
	global_load_dword v74, v[7:8], off offset:1956
	;; [unrolled: 1-line block ×25, first 2 shown]
	s_waitcnt vmcnt(23)
	v_lshrrev_b32_e32 v45, 16, v74
	s_waitcnt vmcnt(22)
	v_lshrrev_b32_e32 v44, 16, v39
	;; [unrolled: 2-line block ×18, first 2 shown]
	v_lshrrev_b32_e32 v40, 16, v22
	v_lshrrev_b32_e32 v47, 16, v30
	;; [unrolled: 1-line block ×6, first 2 shown]
	s_waitcnt vmcnt(5)
	v_lshrrev_b32_e32 v14, 16, v6
	s_waitcnt vmcnt(2)
	v_lshrrev_b32_e32 v10, 16, v50
	v_lshrrev_b32_e32 v12, 16, v4
	;; [unrolled: 1-line block ×3, first 2 shown]
	s_waitcnt vmcnt(0)
	v_lshrrev_b32_e32 v11, 16, v8
	v_lshrrev_b32_e32 v5, 16, v48
.LBB0_11:
	s_or_b32 exec_lo, exec_lo, s1
	v_add_f16_e32 v53, v39, v36
	v_add_f16_e32 v56, v38, v30
	;; [unrolled: 1-line block ×3, first 2 shown]
	v_sub_f16_e32 v66, v46, v44
	v_sub_f16_e32 v57, v36, v30
	v_fma_f16 v53, -0.5, v53, v37
	v_fmac_f16_e32 v37, -0.5, v56
	v_sub_f16_e32 v56, v30, v36
	v_sub_f16_e32 v62, v39, v38
	;; [unrolled: 1-line block ×4, first 2 shown]
	v_fmamk_f16 v65, v66, 0x3b9c, v37
	v_fmac_f16_e32 v37, 0xbb9c, v66
	v_sub_f16_e32 v70, v61, v74
	v_add_f16_e32 v57, v62, v57
	v_sub_f16_e32 v62, v73, v64
	v_fmac_f16_e32 v65, 0xb8b4, v67
	v_fmac_f16_e32 v37, 0x38b4, v67
	v_add_f16_e32 v71, v64, v74
	v_add_f16_e32 v69, v63, v56
	;; [unrolled: 1-line block ×3, first 2 shown]
	v_fmac_f16_e32 v65, 0x34f2, v57
	v_fmac_f16_e32 v37, 0x34f2, v57
	v_add_f16_e32 v70, v62, v70
	v_fma_f16 v56, -0.5, v71, v22
	v_add_f16_e32 v76, v61, v22
	v_fmac_f16_e32 v22, -0.5, v63
	v_add_f16_e32 v57, v42, v45
	v_add_f16_e32 v62, v41, v75
	v_sub_f16_e32 v71, v45, v42
	v_sub_f16_e32 v77, v74, v61
	;; [unrolled: 1-line block ×4, first 2 shown]
	v_fma_f16 v57, -0.5, v57, v40
	v_add_f16_e32 v63, v75, v40
	v_fmac_f16_e32 v40, -0.5, v62
	v_fmamk_f16 v62, v71, 0x3b9c, v22
	v_fmac_f16_e32 v22, 0xbb9c, v71
	v_sub_f16_e32 v82, v75, v41
	v_add_f16_e32 v74, v74, v76
	v_sub_f16_e32 v79, v61, v73
	v_add_f16_e32 v77, v78, v77
	v_sub_f16_e32 v80, v45, v75
	v_fmac_f16_e32 v62, 0xb8b4, v82
	v_fmac_f16_e32 v22, 0x38b4, v82
	v_add_f16_e32 v74, v64, v74
	v_sub_f16_e32 v75, v75, v45
	v_sub_f16_e32 v81, v42, v41
	v_fmac_f16_e32 v62, 0x34f2, v77
	v_fmac_f16_e32 v22, 0x34f2, v77
	v_sub_f16_e32 v77, v41, v42
	v_add_f16_e32 v73, v73, v74
	v_fmamk_f16 v74, v79, 0x3b9c, v57
	v_fmamk_f16 v61, v72, 0xbb9c, v40
	;; [unrolled: 1-line block ×3, first 2 shown]
	v_add_f16_e32 v75, v77, v75
	v_fmac_f16_e32 v57, 0xbb9c, v79
	v_fmac_f16_e32 v74, 0x38b4, v72
	v_fmac_f16_e32 v40, 0x3b9c, v72
	v_add_f16_e32 v80, v81, v80
	v_fmac_f16_e32 v61, 0x38b4, v79
	v_add_f16_e32 v68, v36, v68
	v_fmamk_f16 v81, v67, 0xbb9c, v53
	v_fmac_f16_e32 v78, 0xb8b4, v71
	v_fmac_f16_e32 v74, 0x34f2, v75
	;; [unrolled: 1-line block ×6, first 2 shown]
	v_add_f16_e32 v68, v39, v68
	v_fmac_f16_e32 v81, 0xb8b4, v66
	v_fmac_f16_e32 v78, 0x34f2, v70
	v_mul_f16_e32 v79, 0xb8b4, v74
	v_fmac_f16_e32 v53, 0x3b9c, v67
	v_fmac_f16_e32 v56, 0x38b4, v71
	;; [unrolled: 1-line block ×4, first 2 shown]
	v_mul_f16_e32 v76, 0xbb9c, v61
	v_add_f16_e32 v68, v38, v68
	v_fmac_f16_e32 v81, 0x34f2, v69
	v_fmac_f16_e32 v79, 0x3a79, v78
	;; [unrolled: 1-line block ×4, first 2 shown]
	v_mul_f16_e32 v66, 0xb8b4, v57
	v_mul_f16_e32 v64, 0xbb9c, v40
	v_fmac_f16_e32 v76, 0x34f2, v62
	v_add_f16_e32 v72, v73, v68
	v_add_f16_e32 v67, v81, v79
	v_mul_u32_u24_e32 v71, 10, v24
	v_fmac_f16_e32 v53, 0x34f2, v69
	v_fmac_f16_e32 v66, 0xba79, v56
	;; [unrolled: 1-line block ×3, first 2 shown]
	v_add_f16_e32 v77, v65, v76
	v_pack_b32_f16 v70, v72, v67
	v_lshl_add_u32 v67, v71, 1, 0
	v_sub_f16_e32 v71, v81, v79
	v_add_f16_e32 v69, v17, v15
	v_sub_f16_e32 v65, v65, v76
	v_add_f16_e32 v72, v18, v16
	;; [unrolled: 2-line block ×3, first 2 shown]
	v_add_f16_e32 v80, v37, v64
	v_fma_f16 v75, -0.5, v69, v34
	v_add_f16_e32 v76, v16, v34
	v_fmac_f16_e32 v34, -0.5, v72
	v_sub_f16_e32 v79, v32, v31
	v_pack_b32_f16 v65, v71, v65
	v_pack_b32_f16 v68, v73, v68
	v_sub_f16_e32 v69, v15, v16
	v_sub_f16_e32 v71, v17, v18
	;; [unrolled: 1-line block ×4, first 2 shown]
	v_pack_b32_f16 v77, v77, v80
	v_fmamk_f16 v80, v79, 0x3b9c, v34
	v_sub_f16_e32 v81, v33, v28
	v_fmac_f16_e32 v34, 0xbb9c, v79
	v_add_f16_e32 v69, v71, v69
	ds_write2_b32 v67, v68, v65 offset0:2 offset1:3
	v_add_f16_e32 v65, v73, v72
	v_sub_f16_e32 v71, v59, v58
	v_sub_f16_e32 v72, v54, v55
	v_fmac_f16_e32 v80, 0xb8b4, v81
	ds_write2_b32 v67, v70, v77 offset1:1
	v_fmac_f16_e32 v34, 0x38b4, v81
	v_add_f16_e32 v68, v55, v58
	v_add_f16_e32 v77, v72, v71
	;; [unrolled: 1-line block ×4, first 2 shown]
	v_fmac_f16_e32 v80, 0x34f2, v69
	v_fmac_f16_e32 v34, 0x34f2, v69
	v_fma_f16 v69, -0.5, v68, v2
	v_add_f16_e32 v68, v59, v2
	v_sub_f16_e32 v84, v58, v55
	v_fma_f16 v72, -0.5, v72, v21
	v_add_f16_e32 v85, v60, v21
	v_fmac_f16_e32 v21, -0.5, v73
	v_add_f16_e32 v70, v54, v59
	v_sub_f16_e32 v82, v58, v59
	v_sub_f16_e32 v83, v55, v54
	;; [unrolled: 1-line block ×5, first 2 shown]
	v_fmamk_f16 v73, v84, 0xbb9c, v21
	v_add_f16_e32 v58, v58, v68
	v_fmac_f16_e32 v21, 0x3b9c, v84
	v_fmac_f16_e32 v2, -0.5, v70
	v_sub_f16_e32 v70, v25, v23
	v_sub_f16_e32 v86, v60, v20
	v_add_f16_e32 v82, v83, v82
	v_add_f16_e32 v83, v88, v87
	v_fmac_f16_e32 v73, 0x38b4, v59
	v_add_f16_e32 v55, v55, v58
	v_sub_f16_e32 v58, v60, v25
	v_fmac_f16_e32 v21, 0xb8b4, v59
	v_sub_f16_e32 v60, v20, v23
	v_fmamk_f16 v87, v59, 0x3b9c, v72
	v_fmamk_f16 v71, v70, 0x3b9c, v2
	v_fmac_f16_e32 v2, 0xbb9c, v70
	v_fmac_f16_e32 v73, 0x34f2, v83
	v_add_f16_e32 v54, v54, v55
	v_fmac_f16_e32 v21, 0x34f2, v83
	v_add_f16_e32 v55, v60, v58
	v_fmamk_f16 v83, v86, 0xbb9c, v69
	v_fmac_f16_e32 v87, 0x38b4, v84
	v_fmac_f16_e32 v72, 0xbb9c, v59
	;; [unrolled: 1-line block ×4, first 2 shown]
	v_add_f16_e32 v60, v15, v76
	v_fmamk_f16 v76, v81, 0xbb9c, v75
	v_fmac_f16_e32 v83, 0xb8b4, v70
	v_fmac_f16_e32 v87, 0x34f2, v55
	;; [unrolled: 1-line block ×6, first 2 shown]
	v_mul_f16_e32 v82, 0xbb9c, v73
	v_mul_f16_e32 v58, 0xbb9c, v21
	v_add_f16_e32 v60, v17, v60
	v_fmac_f16_e32 v76, 0xb8b4, v79
	v_fmac_f16_e32 v83, 0x34f2, v77
	v_mul_f16_e32 v88, 0xb8b4, v87
	v_fmac_f16_e32 v75, 0x3b9c, v81
	v_fmac_f16_e32 v69, 0x38b4, v70
	;; [unrolled: 1-line block ×5, first 2 shown]
	v_add_f16_e32 v60, v18, v60
	v_fmac_f16_e32 v76, 0x34f2, v65
	v_fmac_f16_e32 v88, 0x3a79, v83
	;; [unrolled: 1-line block ×4, first 2 shown]
	v_mul_f16_e32 v77, 0xb8b4, v72
	v_add_f16_e32 v68, v80, v82
	v_add_f16_e32 v59, v34, v58
	;; [unrolled: 1-line block ×4, first 2 shown]
	v_sub_f16_e32 v70, v76, v88
	v_sub_f16_e32 v76, v80, v82
	v_fmac_f16_e32 v75, 0x34f2, v65
	v_fmac_f16_e32 v77, 0xba79, v69
	v_pack_b32_f16 v55, v68, v59
	v_pack_b32_f16 v59, v84, v86
	v_add_nc_u32_e32 v68, 0xa8c, v67
	v_add_f16_e32 v65, v4, v1
	v_sub_f16_e32 v54, v60, v54
	v_add_f16_e32 v60, v8, v6
	v_pack_b32_f16 v76, v70, v76
	v_add_f16_e32 v70, v75, v77
	v_fma_f16 v65, -0.5, v65, v29
	v_add_f16_e32 v79, v6, v29
	v_fmac_f16_e32 v29, -0.5, v60
	v_sub_f16_e32 v60, v13, v12
	v_pack_b32_f16 v54, v70, v54
	v_add_nc_u32_e32 v70, 0xa94, v67
	v_sub_f16_e32 v80, v1, v6
	v_sub_f16_e32 v81, v4, v8
	;; [unrolled: 1-line block ×4, first 2 shown]
	ds_write2_b32 v68, v59, v55 offset1:1
	v_add_f16_e32 v55, v49, v50
	v_fmamk_f16 v82, v60, 0x3b9c, v29
	v_sub_f16_e32 v84, v14, v11
	v_fmac_f16_e32 v29, 0xbb9c, v60
	v_add_f16_e32 v80, v81, v80
	ds_write2_b32 v70, v54, v76 offset1:1
	v_add_f16_e32 v54, v88, v86
	v_add_f16_e32 v59, v48, v51
	v_fma_f16 v81, -0.5, v55, v0
	v_add_f16_e32 v55, v51, v0
	v_add_f16_e32 v86, v9, v10
	;; [unrolled: 1-line block ×3, first 2 shown]
	v_fmac_f16_e32 v82, 0xb8b4, v84
	v_fmac_f16_e32 v29, 0x38b4, v84
	v_sub_f16_e32 v76, v51, v50
	v_fmac_f16_e32 v0, -0.5, v59
	v_sub_f16_e32 v59, v50, v51
	v_sub_f16_e32 v91, v50, v49
	v_fma_f16 v86, -0.5, v86, v7
	v_add_f16_e32 v92, v52, v7
	v_fmac_f16_e32 v7, -0.5, v89
	v_add_f16_e32 v50, v50, v55
	v_fmac_f16_e32 v82, 0x34f2, v80
	v_fmac_f16_e32 v29, 0x34f2, v80
	v_sub_f16_e32 v80, v48, v49
	v_sub_f16_e32 v88, v49, v48
	;; [unrolled: 1-line block ×5, first 2 shown]
	v_fmamk_f16 v95, v91, 0xbb9c, v7
	v_sub_f16_e32 v96, v52, v5
	v_fmac_f16_e32 v7, 0x3b9c, v91
	v_add_f16_e32 v49, v49, v50
	v_sub_f16_e32 v50, v52, v10
	v_sub_f16_e32 v52, v5, v9
	v_add_f16_e32 v93, v94, v93
	v_fmac_f16_e32 v95, 0x38b4, v51
	v_fmac_f16_e32 v7, 0xb8b4, v51
	v_add_f16_e32 v48, v48, v49
	v_add_f16_e32 v49, v52, v50
	v_fmamk_f16 v52, v51, 0x3b9c, v86
	v_fmac_f16_e32 v86, 0xbb9c, v51
	v_sub_f16_e32 v90, v10, v9
	v_fmac_f16_e32 v95, 0x34f2, v93
	v_fmac_f16_e32 v7, 0x34f2, v93
	v_fmamk_f16 v93, v96, 0xbb9c, v81
	v_fmac_f16_e32 v81, 0x3b9c, v96
	v_fmac_f16_e32 v86, 0xb8b4, v91
	v_fmamk_f16 v89, v90, 0x3b9c, v0
	v_fmac_f16_e32 v0, 0xbb9c, v90
	v_add_f16_e32 v76, v80, v76
	v_add_f16_e32 v79, v1, v79
	v_fmamk_f16 v80, v84, 0xbb9c, v65
	v_fmac_f16_e32 v52, 0x38b4, v91
	v_fmac_f16_e32 v65, 0x3b9c, v84
	;; [unrolled: 1-line block ×4, first 2 shown]
	v_add_f16_e32 v59, v88, v59
	v_fmac_f16_e32 v89, 0xb8b4, v96
	v_fmac_f16_e32 v0, 0x38b4, v96
	v_add_f16_e32 v79, v4, v79
	v_fmac_f16_e32 v93, 0xb8b4, v90
	v_fmac_f16_e32 v52, 0x34f2, v49
	;; [unrolled: 1-line block ×4, first 2 shown]
	v_mul_f16_e32 v49, 0xb8b4, v86
	v_fmac_f16_e32 v89, 0x34f2, v59
	v_fmac_f16_e32 v0, 0x34f2, v59
	v_mul_f16_e32 v55, 0xbb9c, v95
	v_mul_f16_e32 v59, 0xbb9c, v7
	v_fmac_f16_e32 v80, 0xb8b4, v60
	v_add_f16_e32 v51, v8, v79
	v_fmac_f16_e32 v93, 0x34f2, v76
	v_mul_f16_e32 v79, 0xb8b4, v52
	v_fmac_f16_e32 v65, 0x34f2, v54
	v_fmac_f16_e32 v49, 0xba79, v81
	;; [unrolled: 1-line block ×6, first 2 shown]
	v_add_f16_e32 v60, v48, v51
	v_sub_f16_e32 v48, v51, v48
	v_add_f16_e32 v51, v65, v49
	v_add_f16_e32 v50, v82, v55
	;; [unrolled: 1-line block ×4, first 2 shown]
	v_sub_f16_e32 v54, v80, v79
	v_sub_f16_e32 v55, v82, v55
	v_add_f16_e32 v79, v47, v35
	v_pack_b32_f16 v48, v51, v48
	v_add_f16_e32 v51, v44, v46
	v_pack_b32_f16 v50, v50, v88
	v_pack_b32_f16 v60, v60, v76
	v_add_nc_u32_e32 v76, 0x1518, v67
	v_add_f16_e32 v79, v46, v79
	v_pack_b32_f16 v54, v54, v55
	v_add_f16_e32 v55, v43, v47
	v_fma_f16 v84, -0.5, v51, v35
	v_sub_f16_e32 v51, v30, v38
	v_add_f16_e32 v30, v45, v63
	ds_write2_b32 v76, v60, v50 offset1:1
	v_add_f16_e32 v50, v44, v79
	v_sub_f16_e32 v79, v36, v39
	v_fmac_f16_e32 v35, -0.5, v55
	v_add_f16_e32 v30, v42, v30
	v_sub_f16_e32 v36, v47, v46
	v_sub_f16_e32 v39, v46, v47
	;; [unrolled: 1-line block ×3, first 2 shown]
	v_fmamk_f16 v88, v79, 0xbb9c, v35
	v_fmac_f16_e32 v35, 0x3b9c, v79
	v_sub_f16_e32 v38, v43, v44
	v_mul_f16_e32 v78, 0x38b4, v78
	v_add_f16_e32 v91, v41, v30
	v_sub_f16_e32 v30, v37, v64
	v_sub_f16_e32 v37, v75, v77
	v_fmamk_f16 v75, v51, 0x3b9c, v84
	v_add_f16_e32 v39, v46, v39
	v_fmac_f16_e32 v88, 0x38b4, v51
	v_fmac_f16_e32 v35, 0xb8b4, v51
	v_add_f16_e32 v90, v38, v36
	v_fmac_f16_e32 v78, 0x3a79, v74
	v_sub_f16_e32 v36, v53, v66
	v_mul_f16_e32 v74, 0x3b9c, v62
	v_mul_f16_e32 v77, 0xb4f2, v40
	v_fmac_f16_e32 v75, 0x38b4, v79
	v_add_f16_e32 v82, v43, v50
	v_fmac_f16_e32 v88, 0x34f2, v39
	v_fmac_f16_e32 v35, 0x34f2, v39
	v_sub_f16_e32 v34, v34, v58
	v_sub_f16_e32 v29, v29, v59
	;; [unrolled: 1-line block ×3, first 2 shown]
	v_fmac_f16_e32 v74, 0x34f2, v61
	v_pack_b32_f16 v30, v30, v36
	v_fmac_f16_e32 v77, 0x3b9c, v22
	v_fmac_f16_e32 v75, 0x34f2, v90
	v_add_nc_u32_e32 v80, 0x1520, v67
	v_pack_b32_f16 v34, v34, v37
	v_pack_b32_f16 v22, v29, v38
	ds_write_b32 v67, v30 offset:16
	v_add_f16_e32 v29, v88, v74
	v_add_f16_e32 v30, v35, v77
	;; [unrolled: 1-line block ×4, first 2 shown]
	v_mul_f16_e32 v57, 0xba79, v57
	ds_write2_b32 v80, v48, v54 offset1:1
	ds_write_b32 v67, v34 offset:2716
	ds_write_b32 v67, v22 offset:5416
	v_pack_b32_f16 v22, v29, v30
	v_mad_i32_i24 v30, 0xffffffee, v24, v67
	v_pack_b32_f16 v94, v36, v37
	v_fmac_f16_e32 v84, 0xbb9c, v51
	v_fmac_f16_e32 v57, 0x38b4, v56
	v_sub_f16_e32 v56, v75, v78
	v_add_f16_e32 v75, v33, v19
	s_waitcnt lgkmcnt(0)
	s_barrier
	buffer_gl0_inv
	ds_read_u16 v50, v30 offset:3780
	ds_read_u16 v47, v30 offset:4050
	ds_read_u16 v39, v30
	ds_read_u16 v38, v30 offset:270
	ds_read_u16 v37, v30 offset:540
	;; [unrolled: 1-line block ×27, first 2 shown]
	s_waitcnt lgkmcnt(0)
	v_fmac_f16_e32 v84, 0xb8b4, v79
	s_barrier
	buffer_gl0_inv
	ds_write2_b32 v67, v94, v22 offset1:1
	v_sub_f16_e32 v22, v82, v91
	v_add_f16_e32 v75, v32, v75
	v_add_f16_e32 v79, v31, v32
	;; [unrolled: 1-line block ×3, first 2 shown]
	v_sub_f16_e32 v16, v16, v18
	v_sub_f16_e32 v15, v15, v17
	v_add_f16_e32 v17, v31, v75
	v_fma_f16 v75, -0.5, v79, v19
	v_fmac_f16_e32 v19, -0.5, v82
	v_sub_f16_e32 v18, v33, v32
	v_sub_f16_e32 v78, v28, v31
	;; [unrolled: 1-line block ×3, first 2 shown]
	v_add_f16_e32 v17, v28, v17
	v_sub_f16_e32 v28, v31, v28
	v_fmamk_f16 v31, v16, 0x3b9c, v75
	v_fmac_f16_e32 v75, 0xbb9c, v16
	v_fmamk_f16 v33, v15, 0xbb9c, v19
	v_fmac_f16_e32 v19, 0x3b9c, v15
	v_add_f16_e32 v18, v78, v18
	v_fmac_f16_e32 v31, 0x38b4, v15
	v_fmac_f16_e32 v75, 0xb8b4, v15
	v_add_f16_e32 v15, v28, v32
	v_fmac_f16_e32 v19, 0xb8b4, v16
	v_mul_f16_e32 v21, 0xb4f2, v21
	v_add_f16_e32 v25, v25, v85
	v_fmac_f16_e32 v33, 0x38b4, v16
	v_fmac_f16_e32 v31, 0x34f2, v18
	;; [unrolled: 1-line block ×4, first 2 shown]
	v_mul_f16_e32 v18, 0x3b9c, v71
	v_fmac_f16_e32 v21, 0x3b9c, v2
	v_add_f16_e32 v16, v23, v25
	v_fmac_f16_e32 v33, 0x34f2, v15
	v_add_f16_e32 v32, v12, v13
	;; [unrolled: 2-line block ×3, first 2 shown]
	v_sub_f16_e32 v19, v19, v21
	v_add_f16_e32 v21, v14, v3
	v_add_f16_e32 v16, v20, v16
	;; [unrolled: 1-line block ×3, first 2 shown]
	v_sub_f16_e32 v18, v33, v18
	v_add_f16_e32 v33, v11, v14
	v_add_f16_e32 v21, v13, v21
	v_sub_f16_e32 v6, v6, v8
	v_sub_f16_e32 v1, v1, v4
	;; [unrolled: 1-line block ×4, first 2 shown]
	v_add_f16_e32 v4, v12, v21
	v_fma_f16 v21, -0.5, v32, v3
	v_fmac_f16_e32 v3, -0.5, v33
	v_sub_f16_e32 v13, v13, v14
	v_add_f16_e32 v10, v10, v92
	v_add_f16_e32 v4, v11, v4
	v_sub_f16_e32 v11, v12, v11
	v_fmamk_f16 v12, v6, 0x3b9c, v21
	v_fmac_f16_e32 v21, 0xbb9c, v6
	v_fmamk_f16 v14, v1, 0xbb9c, v3
	v_fmac_f16_e32 v3, 0x3b9c, v1
	v_mul_f16_e32 v15, 0x38b4, v83
	v_fmac_f16_e32 v12, 0x38b4, v1
	v_fmac_f16_e32 v21, 0xb8b4, v1
	v_add_f16_e32 v1, v11, v13
	v_fmac_f16_e32 v14, 0x38b4, v6
	v_fmac_f16_e32 v3, 0xb8b4, v6
	v_add_f16_e32 v8, v28, v8
	v_mul_f16_e32 v23, 0xba79, v72
	v_fmac_f16_e32 v84, 0x34f2, v90
	v_add_f16_e32 v6, v9, v10
	v_fmac_f16_e32 v14, 0x34f2, v1
	v_fmac_f16_e32 v3, 0x34f2, v1
	v_mul_f16_e32 v1, 0x38b4, v93
	v_fmac_f16_e32 v15, 0x3a79, v87
	v_fmac_f16_e32 v12, 0x34f2, v8
	;; [unrolled: 1-line block ×3, first 2 shown]
	v_mul_f16_e32 v8, 0x3b9c, v89
	v_mul_f16_e32 v7, 0xb4f2, v7
	v_fmac_f16_e32 v23, 0x38b4, v69
	v_mul_f16_e32 v9, 0xba79, v86
	v_sub_f16_e32 v74, v88, v74
	v_sub_f16_e32 v35, v35, v77
	v_add_f16_e32 v77, v84, v57
	v_sub_f16_e32 v57, v84, v57
	v_add_f16_e32 v5, v5, v6
	v_fmac_f16_e32 v1, 0x3a79, v52
	v_add_f16_e32 v2, v16, v17
	v_sub_f16_e32 v16, v17, v16
	v_add_f16_e32 v17, v31, v15
	v_fmac_f16_e32 v8, 0x34f2, v95
	v_fmac_f16_e32 v7, 0x3b9c, v0
	v_sub_f16_e32 v15, v31, v15
	v_add_f16_e32 v31, v75, v23
	v_fmac_f16_e32 v9, 0x38b4, v81
	v_sub_f16_e32 v23, v75, v23
	v_add_f16_e32 v0, v5, v4
	v_sub_f16_e32 v4, v4, v5
	v_add_f16_e32 v5, v12, v1
	v_sub_f16_e32 v1, v12, v1
	v_pack_b32_f16 v11, v56, v74
	v_pack_b32_f16 v12, v77, v22
	;; [unrolled: 1-line block ×3, first 2 shown]
	v_add_f16_e32 v6, v14, v8
	v_sub_f16_e32 v8, v14, v8
	v_add_f16_e32 v10, v3, v7
	v_pack_b32_f16 v14, v20, v25
	v_pack_b32_f16 v2, v2, v17
	v_sub_f16_e32 v3, v3, v7
	v_add_f16_e32 v7, v21, v9
	v_pack_b32_f16 v15, v15, v18
	v_pack_b32_f16 v16, v31, v16
	ds_write2_b32 v67, v12, v11 offset0:2 offset1:3
	ds_write_b32 v67, v13 offset:16
	ds_write2_b32 v68, v2, v14 offset1:1
	ds_write2_b32 v70, v16, v15 offset1:1
	v_pack_b32_f16 v2, v19, v23
	v_add_nc_u32_e32 v33, 0x87, v24
	v_mov_b32_e32 v13, 0xcccd
	v_pack_b32_f16 v6, v6, v10
	v_pack_b32_f16 v0, v0, v5
	v_pack_b32_f16 v1, v1, v8
	v_pack_b32_f16 v4, v7, v4
	v_and_b32_e32 v28, 0xff, v24
	ds_write_b32 v67, v2 offset:2716
	ds_write2_b32 v76, v0, v6 offset1:1
	ds_write2_b32 v80, v4, v1 offset1:1
	v_mul_u32_u24_sdwa v4, v33, v13 dst_sel:DWORD dst_unused:UNUSED_PAD src0_sel:WORD_0 src1_sel:DWORD
	v_sub_f16_e32 v9, v21, v9
	v_mul_lo_u16 v20, 0xcd, v28
	v_add_nc_u32_e32 v35, 0x10e, v24
	v_mov_b32_e32 v12, 4
	v_lshrrev_b32_e32 v57, 19, v4
	v_pack_b32_f16 v3, v3, v9
	v_lshrrev_b16 v52, 11, v20
	v_add_nc_u32_e32 v25, 0x195, v24
	v_add_nc_u32_e32 v31, 0x21c, v24
	v_mul_lo_u16 v4, v57, 10
	ds_write_b32 v67, v3 offset:5416
	v_mul_lo_u16 v11, v52, 10
	s_waitcnt lgkmcnt(0)
	s_barrier
	v_sub_nc_u16 v68, v33, v4
	v_mul_u32_u24_sdwa v4, v35, v13 dst_sel:DWORD dst_unused:UNUSED_PAD src0_sel:WORD_0 src1_sel:DWORD
	v_sub_nc_u16 v56, v24, v11
	buffer_gl0_inv
	v_add_nc_u32_e32 v32, 0x2a3, v24
	v_lshlrev_b32_sdwa v5, v12, v68 dst_sel:DWORD dst_unused:UNUSED_PAD src0_sel:DWORD src1_sel:WORD_0
	v_lshrrev_b32_e32 v67, 19, v4
	v_lshlrev_b32_sdwa v0, v12, v56 dst_sel:DWORD dst_unused:UNUSED_PAD src0_sel:DWORD src1_sel:BYTE_0
	v_cmp_gt_u32_e64 s0, 15, v24
	global_load_dwordx4 v[4:7], v5, s[8:9]
	v_mul_lo_u16 v8, v67, 10
	global_load_dwordx4 v[0:3], v0, s[8:9]
	v_sub_nc_u16 v70, v35, v8
	v_mul_u32_u24_sdwa v8, v25, v13 dst_sel:DWORD dst_unused:UNUSED_PAD src0_sel:WORD_0 src1_sel:DWORD
	v_lshlrev_b32_sdwa v9, v12, v70 dst_sel:DWORD dst_unused:UNUSED_PAD src0_sel:DWORD src1_sel:WORD_0
	v_lshrrev_b32_e32 v69, 19, v8
	global_load_dwordx4 v[8:11], v9, s[8:9]
	v_mul_lo_u16 v14, v69, 10
	v_sub_nc_u16 v71, v25, v14
	v_mul_u32_u24_sdwa v14, v31, v13 dst_sel:DWORD dst_unused:UNUSED_PAD src0_sel:WORD_0 src1_sel:DWORD
	v_mul_u32_u24_sdwa v13, v32, v13 dst_sel:DWORD dst_unused:UNUSED_PAD src0_sel:WORD_0 src1_sel:DWORD
	v_lshlrev_b32_sdwa v15, v12, v71 dst_sel:DWORD dst_unused:UNUSED_PAD src0_sel:DWORD src1_sel:WORD_0
	v_lshrrev_b32_e32 v74, 19, v14
	v_lshrrev_b32_e32 v72, 19, v13
	global_load_dwordx4 v[20:23], v15, s[8:9]
	v_mul_lo_u16 v14, v74, 10
	v_mul_lo_u16 v13, v72, 10
	v_sub_nc_u16 v75, v31, v14
	v_sub_nc_u16 v73, v32, v13
	v_lshlrev_b32_sdwa v14, v12, v75 dst_sel:DWORD dst_unused:UNUSED_PAD src0_sel:DWORD src1_sel:WORD_0
	v_lshlrev_b32_sdwa v12, v12, v73 dst_sel:DWORD dst_unused:UNUSED_PAD src0_sel:DWORD src1_sel:WORD_0
	s_clause 0x1
	global_load_dwordx4 v[16:19], v14, s[8:9]
	global_load_dwordx4 v[12:15], v12, s[8:9]
	ds_read_u16 v79, v30 offset:1620
	ds_read_u16 v78, v30 offset:3240
	;; [unrolled: 1-line block ×10, first 2 shown]
	s_waitcnt vmcnt(5) lgkmcnt(6)
	v_mul_f16_sdwa v101, v76, v4 dst_sel:DWORD dst_unused:UNUSED_PAD src0_sel:DWORD src1_sel:WORD_1
	s_waitcnt lgkmcnt(4)
	v_mul_f16_sdwa v102, v82, v5 dst_sel:DWORD dst_unused:UNUSED_PAD src0_sel:DWORD src1_sel:WORD_1
	s_waitcnt vmcnt(4)
	v_mul_f16_sdwa v86, v79, v0 dst_sel:DWORD dst_unused:UNUSED_PAD src0_sel:DWORD src1_sel:WORD_1
	v_mul_f16_sdwa v88, v78, v1 dst_sel:DWORD dst_unused:UNUSED_PAD src0_sel:DWORD src1_sel:WORD_1
	;; [unrolled: 1-line block ×5, first 2 shown]
	v_fmac_f16_e32 v86, v64, v0
	v_fmac_f16_e32 v88, v65, v1
	v_fma_f16 v89, v78, v1, -v89
	ds_read_u16 v1, v30 offset:5130
	ds_read_u16 v64, v30 offset:5400
	ds_read_u16 v65, v30 offset:5670
	ds_read_u16 v90, v30 offset:5940
	ds_read_u16 v91, v30 offset:6210
	ds_read_u16 v92, v30 offset:4590
	v_mul_f16_sdwa v78, v63, v2 dst_sel:DWORD dst_unused:UNUSED_PAD src0_sel:DWORD src1_sel:WORD_1
	v_fmac_f16_e32 v93, v63, v2
	s_waitcnt lgkmcnt(6)
	v_mul_f16_sdwa v97, v84, v3 dst_sel:DWORD dst_unused:UNUSED_PAD src0_sel:DWORD src1_sel:WORD_1
	v_mul_f16_sdwa v98, v66, v3 dst_sel:DWORD dst_unused:UNUSED_PAD src0_sel:DWORD src1_sel:WORD_1
	v_fma_f16 v0, v79, v0, -v81
	v_fma_f16 v100, v77, v2, -v78
	v_mul_f16_sdwa v2, v59, v4 dst_sel:DWORD dst_unused:UNUSED_PAD src0_sel:DWORD src1_sel:WORD_1
	ds_read_u16 v79, v30 offset:6750
	ds_read_u16 v81, v30 offset:7020
	;; [unrolled: 1-line block ×5, first 2 shown]
	v_fmac_f16_e32 v97, v66, v3
	v_fma_f16 v98, v84, v3, -v98
	v_mul_f16_sdwa v3, v60, v5 dst_sel:DWORD dst_unused:UNUSED_PAD src0_sel:DWORD src1_sel:WORD_1
	v_fma_f16 v104, v76, v4, -v2
	v_mul_f16_sdwa v2, v61, v6 dst_sel:DWORD dst_unused:UNUSED_PAD src0_sel:DWORD src1_sel:WORD_1
	ds_read_u16 v99, v30 offset:2160
	s_waitcnt lgkmcnt(11)
	v_mul_f16_sdwa v103, v1, v6 dst_sel:DWORD dst_unused:UNUSED_PAD src0_sel:DWORD src1_sel:WORD_1
	v_fmac_f16_e32 v101, v59, v4
	v_fmac_f16_e32 v102, v60, v5
	v_fma_f16 v108, v1, v6, -v2
	s_waitcnt vmcnt(3)
	v_mul_f16_sdwa v1, v50, v9 dst_sel:DWORD dst_unused:UNUSED_PAD src0_sel:DWORD src1_sel:WORD_1
	v_fma_f16 v105, v82, v5, -v3
	ds_read_u16 v4, v30 offset:2430
	ds_read_u16 v5, v30 offset:2700
	v_mul_f16_sdwa v3, v62, v7 dst_sel:DWORD dst_unused:UNUSED_PAD src0_sel:DWORD src1_sel:WORD_1
	v_mul_f16_sdwa v2, v54, v10 dst_sel:DWORD dst_unused:UNUSED_PAD src0_sel:DWORD src1_sel:WORD_1
	v_fma_f16 v113, v83, v9, -v1
	v_mul_f16_sdwa v1, v58, v11 dst_sel:DWORD dst_unused:UNUSED_PAD src0_sel:DWORD src1_sel:WORD_1
	s_waitcnt lgkmcnt(6)
	v_mul_f16_sdwa v112, v81, v11 dst_sel:DWORD dst_unused:UNUSED_PAD src0_sel:DWORD src1_sel:WORD_1
	v_fma_f16 v109, v79, v7, -v3
	s_waitcnt vmcnt(2)
	v_mul_f16_sdwa v3, v48, v20 dst_sel:DWORD dst_unused:UNUSED_PAD src0_sel:DWORD src1_sel:WORD_1
	v_mul_f16_sdwa v106, v79, v7 dst_sel:DWORD dst_unused:UNUSED_PAD src0_sel:DWORD src1_sel:WORD_1
	v_fma_f16 v115, v81, v11, -v1
	v_mul_f16_sdwa v1, v47, v21 dst_sel:DWORD dst_unused:UNUSED_PAD src0_sel:DWORD src1_sel:WORD_1
	v_fma_f16 v114, v64, v10, -v2
	ds_read_u16 v2, v30 offset:4320
	v_mul_f16_sdwa v82, v85, v21 dst_sel:DWORD dst_unused:UNUSED_PAD src0_sel:DWORD src1_sel:WORD_1
	v_mul_f16_sdwa v84, v65, v22 dst_sel:DWORD dst_unused:UNUSED_PAD src0_sel:DWORD src1_sel:WORD_1
	v_fma_f16 v81, v85, v21, -v1
	v_mul_f16_sdwa v1, v49, v22 dst_sel:DWORD dst_unused:UNUSED_PAD src0_sel:DWORD src1_sel:WORD_1
	s_waitcnt lgkmcnt(6)
	v_mul_f16_sdwa v85, v94, v23 dst_sel:DWORD dst_unused:UNUSED_PAD src0_sel:DWORD src1_sel:WORD_1
	v_fmac_f16_e32 v82, v47, v21
	s_waitcnt lgkmcnt(2)
	v_fma_f16 v79, v4, v20, -v3
	v_mul_f16_sdwa v3, v55, v23 dst_sel:DWORD dst_unused:UNUSED_PAD src0_sel:DWORD src1_sel:WORD_1
	v_fma_f16 v78, v65, v22, -v1
	s_waitcnt vmcnt(1)
	v_mul_f16_sdwa v1, v44, v16 dst_sel:DWORD dst_unused:UNUSED_PAD src0_sel:DWORD src1_sel:WORD_1
	v_fmac_f16_e32 v85, v55, v23
	v_mul_f16_sdwa v107, v99, v8 dst_sel:DWORD dst_unused:UNUSED_PAD src0_sel:DWORD src1_sel:WORD_1
	v_fma_f16 v77, v94, v23, -v3
	v_mul_f16_sdwa v59, v53, v8 dst_sel:DWORD dst_unused:UNUSED_PAD src0_sel:DWORD src1_sel:WORD_1
	s_waitcnt lgkmcnt(1)
	v_fma_f16 v23, v5, v16, -v1
	v_mul_f16_sdwa v1, v45, v18 dst_sel:DWORD dst_unused:UNUSED_PAD src0_sel:DWORD src1_sel:WORD_1
	v_fmac_f16_e32 v84, v49, v22
	v_mul_f16_sdwa v3, v42, v17 dst_sel:DWORD dst_unused:UNUSED_PAD src0_sel:DWORD src1_sel:WORD_1
	v_fmac_f16_e32 v106, v62, v7
	v_fmac_f16_e32 v107, v53, v8
	v_fma_f16 v21, v90, v18, -v1
	v_mul_f16_sdwa v1, v51, v19 dst_sel:DWORD dst_unused:UNUSED_PAD src0_sel:DWORD src1_sel:WORD_1
	v_fma_f16 v99, v99, v8, -v59
	v_mul_f16_sdwa v110, v83, v9 dst_sel:DWORD dst_unused:UNUSED_PAD src0_sel:DWORD src1_sel:WORD_1
	s_waitcnt lgkmcnt(0)
	v_mul_f16_sdwa v65, v2, v17 dst_sel:DWORD dst_unused:UNUSED_PAD src0_sel:DWORD src1_sel:WORD_1
	v_fma_f16 v63, v2, v17, -v3
	v_fma_f16 v22, v95, v19, -v1
	s_waitcnt vmcnt(0)
	v_mul_f16_sdwa v1, v43, v13 dst_sel:DWORD dst_unused:UNUSED_PAD src0_sel:DWORD src1_sel:WORD_1
	v_mul_f16_sdwa v8, v87, v12 dst_sel:DWORD dst_unused:UNUSED_PAD src0_sel:DWORD src1_sel:WORD_1
	v_mul_f16_sdwa v2, v41, v12 dst_sel:DWORD dst_unused:UNUSED_PAD src0_sel:DWORD src1_sel:WORD_1
	v_fmac_f16_e32 v103, v61, v6
	v_mul_f16_sdwa v111, v64, v10 dst_sel:DWORD dst_unused:UNUSED_PAD src0_sel:DWORD src1_sel:WORD_1
	v_fma_f16 v7, v92, v13, -v1
	v_add_f16_e32 v1, v88, v93
	v_fmac_f16_e32 v110, v50, v9
	v_mul_f16_sdwa v83, v4, v20 dst_sel:DWORD dst_unused:UNUSED_PAD src0_sel:DWORD src1_sel:WORD_1
	v_mul_f16_sdwa v6, v92, v13 dst_sel:DWORD dst_unused:UNUSED_PAD src0_sel:DWORD src1_sel:WORD_1
	v_fmac_f16_e32 v8, v41, v12
	v_fma_f16 v4, v87, v12, -v2
	v_mul_f16_sdwa v2, v40, v14 dst_sel:DWORD dst_unused:UNUSED_PAD src0_sel:DWORD src1_sel:WORD_1
	v_fma_f16 v9, -0.5, v1, v39
	v_sub_f16_e32 v1, v0, v98
	ds_read_u16 v41, v30
	v_fmac_f16_e32 v111, v54, v10
	v_fmac_f16_e32 v112, v58, v11
	v_mul_f16_sdwa v66, v90, v18 dst_sel:DWORD dst_unused:UNUSED_PAD src0_sel:DWORD src1_sel:WORD_1
	v_fmac_f16_e32 v6, v43, v13
	v_fma_f16 v3, v91, v14, -v2
	v_mul_f16_sdwa v2, v46, v15 dst_sel:DWORD dst_unused:UNUSED_PAD src0_sel:DWORD src1_sel:WORD_1
	v_sub_f16_e32 v10, v86, v88
	v_sub_f16_e32 v11, v97, v93
	v_fmamk_f16 v12, v1, 0xbb9c, v9
	v_sub_f16_e32 v13, v89, v100
	v_fmac_f16_e32 v9, 0x3b9c, v1
	v_mul_f16_sdwa v64, v5, v16 dst_sel:DWORD dst_unused:UNUSED_PAD src0_sel:DWORD src1_sel:WORD_1
	v_fmac_f16_e32 v66, v45, v18
	v_mul_f16_sdwa v18, v91, v14 dst_sel:DWORD dst_unused:UNUSED_PAD src0_sel:DWORD src1_sel:WORD_1
	v_fma_f16 v5, v96, v15, -v2
	v_add_f16_e32 v2, v86, v97
	v_add_f16_e32 v10, v10, v11
	v_fmac_f16_e32 v12, 0xb8b4, v13
	v_fmac_f16_e32 v9, 0x38b4, v13
	;; [unrolled: 1-line block ×3, first 2 shown]
	v_mul_f16_sdwa v76, v95, v19 dst_sel:DWORD dst_unused:UNUSED_PAD src0_sel:DWORD src1_sel:WORD_1
	v_mul_f16_sdwa v20, v96, v15 dst_sel:DWORD dst_unused:UNUSED_PAD src0_sel:DWORD src1_sel:WORD_1
	v_fmac_f16_e32 v18, v40, v14
	v_add_f16_e32 v11, v39, v86
	v_fmac_f16_e32 v39, -0.5, v2
	v_sub_f16_e32 v2, v88, v86
	v_sub_f16_e32 v14, v93, v97
	v_fmac_f16_e32 v12, 0x34f2, v10
	v_fmac_f16_e32 v9, 0x34f2, v10
	v_add_f16_e32 v10, v89, v100
	v_fmac_f16_e32 v64, v44, v16
	v_fmac_f16_e32 v65, v42, v17
	;; [unrolled: 1-line block ×4, first 2 shown]
	v_fmamk_f16 v15, v13, 0x3b9c, v39
	v_fmac_f16_e32 v39, 0xbb9c, v13
	v_add_f16_e32 v2, v2, v14
	v_sub_f16_e32 v13, v86, v97
	v_sub_f16_e32 v14, v0, v89
	;; [unrolled: 1-line block ×3, first 2 shown]
	s_waitcnt lgkmcnt(0)
	v_fma_f16 v90, -0.5, v10, v41
	v_add_f16_e32 v17, v0, v98
	v_add_f16_e32 v19, v41, v0
	;; [unrolled: 1-line block ×3, first 2 shown]
	v_sub_f16_e32 v10, v88, v93
	v_add_f16_e32 v14, v14, v16
	v_fmamk_f16 v88, v13, 0x3b9c, v90
	v_fmac_f16_e32 v90, 0xbb9c, v13
	v_fmac_f16_e32 v41, -0.5, v17
	v_add_f16_e32 v16, v19, v89
	v_sub_f16_e32 v0, v89, v0
	v_fmac_f16_e32 v88, 0x38b4, v10
	v_fmac_f16_e32 v90, 0xb8b4, v10
	v_sub_f16_e32 v17, v100, v98
	v_fmamk_f16 v89, v10, 0xbb9c, v41
	v_fmac_f16_e32 v41, 0x3b9c, v10
	v_add_f16_e32 v10, v16, v100
	v_add_f16_e32 v16, v102, v103
	;; [unrolled: 1-line block ×3, first 2 shown]
	v_fmac_f16_e32 v89, 0x38b4, v13
	v_fmac_f16_e32 v41, 0xb8b4, v13
	v_add_f16_e32 v91, v10, v98
	v_fma_f16 v10, -0.5, v16, v38
	v_sub_f16_e32 v13, v104, v109
	v_sub_f16_e32 v16, v101, v102
	;; [unrolled: 1-line block ×3, first 2 shown]
	v_fmac_f16_e32 v88, 0x34f2, v14
	v_fmac_f16_e32 v90, 0x34f2, v14
	v_fmamk_f16 v14, v13, 0xbb9c, v10
	v_sub_f16_e32 v19, v105, v108
	v_add_f16_e32 v16, v16, v17
	v_add_f16_e32 v17, v101, v106
	v_fmac_f16_e32 v10, 0x3b9c, v13
	v_fmac_f16_e32 v89, 0x34f2, v0
	;; [unrolled: 1-line block ×4, first 2 shown]
	v_add_f16_e32 v0, v38, v101
	v_fmac_f16_e32 v38, -0.5, v17
	v_fmac_f16_e32 v10, 0x38b4, v19
	v_fmac_f16_e32 v14, 0x34f2, v16
	v_sub_f16_e32 v17, v102, v101
	v_sub_f16_e32 v40, v103, v106
	v_fmamk_f16 v42, v19, 0x3b9c, v38
	v_fmac_f16_e32 v10, 0x34f2, v16
	v_fmac_f16_e32 v38, 0xbb9c, v19
	v_add_f16_e32 v16, v110, v111
	v_add_f16_e32 v17, v17, v40
	v_fmac_f16_e32 v42, 0xb8b4, v13
	v_sub_f16_e32 v19, v107, v110
	v_sub_f16_e32 v40, v112, v111
	v_fma_f16 v16, -0.5, v16, v37
	v_sub_f16_e32 v43, v99, v115
	v_fmac_f16_e32 v38, 0x38b4, v13
	v_add_f16_e32 v13, v107, v112
	v_add_f16_e32 v19, v19, v40
	;; [unrolled: 1-line block ×3, first 2 shown]
	v_fmamk_f16 v45, v43, 0xbb9c, v16
	v_sub_f16_e32 v40, v113, v114
	v_fmac_f16_e32 v37, -0.5, v13
	v_fmac_f16_e32 v16, 0x3b9c, v43
	v_sub_f16_e32 v13, v110, v107
	v_sub_f16_e32 v46, v111, v112
	v_fmac_f16_e32 v45, 0xb8b4, v40
	v_fmamk_f16 v47, v40, 0x3b9c, v37
	v_fmac_f16_e32 v37, 0xbb9c, v40
	v_fmac_f16_e32 v16, 0x38b4, v40
	v_add_f16_e32 v40, v82, v84
	v_add_f16_e32 v13, v13, v46
	v_fmac_f16_e32 v47, 0xb8b4, v43
	v_fmac_f16_e32 v37, 0x38b4, v43
	v_fmac_f16_e32 v42, 0x34f2, v17
	v_fmac_f16_e32 v38, 0x34f2, v17
	v_fma_f16 v17, -0.5, v40, v36
	v_sub_f16_e32 v40, v79, v77
	v_sub_f16_e32 v43, v83, v82
	;; [unrolled: 1-line block ×3, first 2 shown]
	v_fmac_f16_e32 v45, 0x34f2, v19
	v_fmac_f16_e32 v16, 0x34f2, v19
	v_fmamk_f16 v19, v40, 0xbb9c, v17
	v_sub_f16_e32 v48, v81, v78
	v_add_f16_e32 v43, v43, v46
	v_add_f16_e32 v46, v83, v85
	v_fmac_f16_e32 v17, 0x3b9c, v40
	v_fmac_f16_e32 v47, 0x34f2, v13
	;; [unrolled: 1-line block ×4, first 2 shown]
	v_add_f16_e32 v13, v36, v83
	v_fmac_f16_e32 v36, -0.5, v46
	v_fmac_f16_e32 v17, 0x38b4, v48
	v_fmac_f16_e32 v19, 0x34f2, v43
	v_sub_f16_e32 v46, v82, v83
	v_sub_f16_e32 v49, v84, v85
	v_fmamk_f16 v50, v48, 0x3b9c, v36
	v_fmac_f16_e32 v17, 0x34f2, v43
	v_fmac_f16_e32 v36, 0xbb9c, v48
	v_add_f16_e32 v43, v65, v66
	v_add_f16_e32 v46, v46, v49
	v_fmac_f16_e32 v50, 0xb8b4, v40
	v_sub_f16_e32 v48, v64, v65
	v_sub_f16_e32 v49, v76, v66
	v_fma_f16 v43, -0.5, v43, v29
	v_sub_f16_e32 v51, v23, v22
	v_fmac_f16_e32 v36, 0x38b4, v40
	v_add_f16_e32 v40, v64, v76
	v_add_f16_e32 v48, v48, v49
	;; [unrolled: 1-line block ×3, first 2 shown]
	v_fmamk_f16 v53, v51, 0xbb9c, v43
	v_sub_f16_e32 v54, v63, v21
	v_fmac_f16_e32 v29, -0.5, v40
	v_fmac_f16_e32 v43, 0x3b9c, v51
	v_sub_f16_e32 v40, v65, v64
	v_sub_f16_e32 v55, v66, v76
	v_fmac_f16_e32 v53, 0xb8b4, v54
	v_fmamk_f16 v58, v54, 0x3b9c, v29
	v_fmac_f16_e32 v29, 0xbb9c, v54
	v_fmac_f16_e32 v43, 0x38b4, v54
	v_add_f16_e32 v54, v6, v18
	v_add_f16_e32 v40, v40, v55
	v_fmac_f16_e32 v58, 0xb8b4, v51
	v_fmac_f16_e32 v29, 0x38b4, v51
	;; [unrolled: 1-line block ×4, first 2 shown]
	v_fma_f16 v46, -0.5, v54, v34
	v_sub_f16_e32 v51, v4, v5
	v_fmac_f16_e32 v53, 0x34f2, v48
	v_fmac_f16_e32 v43, 0x34f2, v48
	v_sub_f16_e32 v48, v8, v6
	v_sub_f16_e32 v54, v20, v18
	v_add_f16_e32 v60, v8, v20
	v_fmamk_f16 v55, v51, 0xbb9c, v46
	v_sub_f16_e32 v59, v7, v3
	v_fmac_f16_e32 v46, 0x3b9c, v51
	v_add_f16_e32 v48, v48, v54
	v_add_f16_e32 v54, v34, v8
	v_fmac_f16_e32 v34, -0.5, v60
	v_fmac_f16_e32 v58, 0x34f2, v40
	v_fmac_f16_e32 v29, 0x34f2, v40
	v_mov_b32_e32 v62, 0x64
	v_mov_b32_e32 v40, 1
	v_fmac_f16_e32 v15, 0xb8b4, v1
	v_fmac_f16_e32 v39, 0x38b4, v1
	v_add_f16_e32 v1, v11, v93
	v_fmac_f16_e32 v55, 0xb8b4, v59
	v_fmac_f16_e32 v46, 0x38b4, v59
	v_fmamk_f16 v92, v59, 0x3b9c, v34
	v_fmac_f16_e32 v34, 0xbb9c, v59
	v_mul_u32_u24_sdwa v52, v52, v62 dst_sel:DWORD dst_unused:UNUSED_PAD src0_sel:WORD_0 src1_sel:DWORD
	v_lshlrev_b32_sdwa v56, v40, v56 dst_sel:DWORD dst_unused:UNUSED_PAD src0_sel:DWORD src1_sel:BYTE_0
	v_add_f16_e32 v0, v0, v102
	v_fmac_f16_e32 v15, 0x34f2, v2
	v_add_f16_e32 v11, v1, v97
	v_fmac_f16_e32 v92, 0xb8b4, v51
	v_fmac_f16_e32 v34, 0x38b4, v51
	;; [unrolled: 1-line block ×4, first 2 shown]
	v_add3_u32 v52, 0, v52, v56
	v_mul_u32_u24_e32 v48, 0x64, v57
	v_lshlrev_b32_sdwa v51, v40, v68 dst_sel:DWORD dst_unused:UNUSED_PAD src0_sel:DWORD src1_sel:WORD_0
	v_add_f16_e32 v0, v0, v103
	v_fmac_f16_e32 v39, 0x34f2, v2
	ds_read_u16 v86, v30 offset:270
	ds_read_u16 v87, v30 offset:540
	;; [unrolled: 1-line block ×4, first 2 shown]
	s_waitcnt lgkmcnt(0)
	s_barrier
	buffer_gl0_inv
	ds_write_b16 v52, v11
	ds_write_b16 v52, v12 offset:20
	v_add3_u32 v68, 0, v48, v51
	v_add_f16_e32 v0, v0, v106
	ds_write_b16 v52, v15 offset:40
	ds_write_b16 v52, v39 offset:60
	;; [unrolled: 1-line block ×3, first 2 shown]
	v_add_f16_e32 v9, v44, v110
	ds_write_b16 v68, v0
	ds_write_b16 v68, v14 offset:20
	v_mul_u32_u24_e32 v0, 0x64, v67
	v_lshlrev_b32_sdwa v11, v40, v70 dst_sel:DWORD dst_unused:UNUSED_PAD src0_sel:DWORD src1_sel:WORD_0
	v_add_f16_e32 v9, v9, v111
	v_add_f16_e32 v12, v13, v82
	ds_write_b16 v68, v42 offset:40
	ds_write_b16 v68, v38 offset:60
	v_sub_f16_e32 v60, v6, v8
	v_add3_u32 v38, 0, v0, v11
	v_add_f16_e32 v0, v9, v112
	v_mul_u32_u24_e32 v9, 0x64, v69
	v_lshlrev_b32_sdwa v11, v40, v71 dst_sel:DWORD dst_unused:UNUSED_PAD src0_sel:DWORD src1_sel:WORD_0
	v_add_f16_e32 v12, v12, v84
	ds_write_b16 v68, v10 offset:80
	ds_write_b16 v38, v0
	ds_write_b16 v38, v45 offset:20
	ds_write_b16 v38, v47 offset:40
	;; [unrolled: 1-line block ×3, first 2 shown]
	v_lshlrev_b32_sdwa v10, v40, v75 dst_sel:DWORD dst_unused:UNUSED_PAD src0_sel:DWORD src1_sel:WORD_0
	v_add3_u32 v39, 0, v9, v11
	v_add_f16_e32 v9, v49, v65
	v_add_f16_e32 v0, v12, v85
	ds_write_b16 v38, v16 offset:80
	ds_write_b16 v39, v0
	v_mul_u32_u24_e32 v0, 0x64, v74
	v_add_f16_e32 v9, v9, v66
	v_add_f16_e32 v11, v54, v6
	v_sub_f16_e32 v61, v18, v20
	ds_write_b16 v39, v19 offset:20
	ds_write_b16 v39, v50 offset:40
	v_add3_u32 v37, 0, v0, v10
	v_add_f16_e32 v0, v9, v76
	v_mul_u32_u24_e32 v9, 0x64, v72
	v_lshlrev_b32_sdwa v10, v40, v73 dst_sel:DWORD dst_unused:UNUSED_PAD src0_sel:DWORD src1_sel:WORD_0
	v_add_f16_e32 v11, v11, v18
	v_add_f16_e32 v59, v60, v61
	ds_write_b16 v39, v36 offset:60
	ds_write_b16 v39, v17 offset:80
	ds_write_b16 v37, v0
	v_add_f16_e32 v67, v86, v104
	v_add3_u32 v36, 0, v9, v10
	v_add_f16_e32 v0, v11, v20
	v_fmac_f16_e32 v92, 0x34f2, v59
	v_fmac_f16_e32 v34, 0x34f2, v59
	ds_write_b16 v37, v53 offset:20
	ds_write_b16 v37, v58 offset:40
	ds_write_b16 v37, v29 offset:60
	ds_write_b16 v37, v43 offset:80
	ds_write_b16 v36, v0
	ds_write_b16 v36, v55 offset:20
	ds_write_b16 v36, v92 offset:40
	;; [unrolled: 1-line block ×4, first 2 shown]
	v_lshlrev_b32_e32 v0, 1, v24
	s_waitcnt lgkmcnt(0)
	s_barrier
	buffer_gl0_inv
	ds_read_u16 v19, v30
	ds_read_u16 v16, v30 offset:270
	ds_read_u16 v17, v30 offset:540
	ds_read_u16 v14, v30 offset:810
	ds_read_u16 v12, v30 offset:1080
	ds_read_u16 v10, v30 offset:1350
	ds_read_u16 v60, v30 offset:2700
	ds_read_u16 v9, v30 offset:1620
	ds_read_u16 v56, v30 offset:5940
	ds_read_u16 v54, v30 offset:6210
	ds_read_u16 v51, v30 offset:6480
	ds_read_u16 v49, v30 offset:6750
	ds_read_u16 v47, v30 offset:7020
	v_add_nc_u32_e32 v34, 0, v0
	ds_read_u16 v59, v30 offset:2970
	ds_read_u16 v58, v30 offset:3240
	ds_read_u16 v57, v30 offset:3510
	ds_read_u16 v55, v30 offset:3780
	ds_read_u16 v53, v30 offset:4050
	ds_read_u16 v50, v30 offset:4320
	ds_read_u16 v48, v30 offset:4590
	ds_read_u16 v45, v30 offset:4860
	ds_read_u16 v46, v30 offset:7290
	ds_read_u16 v44, v30 offset:7560
	ds_read_u16 v11, v34 offset:2430
	ds_read_u16 v61, v30 offset:5670
	ds_read_u16 v62, v30 offset:5400
	ds_read_u16 v42, v30 offset:5130
	ds_read_u16 v13, v34 offset:2160
	ds_read_u16 v15, v34 offset:1890
	ds_read_u16 v43, v30 offset:7830
	s_waitcnt lgkmcnt(0)
	s_barrier
	buffer_gl0_inv
	ds_write_b16 v52, v91
	ds_write_b16 v52, v88 offset:20
	ds_write_b16 v52, v89 offset:40
	;; [unrolled: 1-line block ×3, first 2 shown]
	v_add_f16_e32 v29, v105, v108
	v_add_f16_e32 v41, v104, v109
	v_sub_f16_e32 v69, v109, v108
	v_sub_f16_e32 v70, v101, v106
	ds_write_b16 v52, v90 offset:80
	v_fma_f16 v29, -0.5, v29, v86
	v_fmac_f16_e32 v86, -0.5, v41
	v_add_f16_e32 v41, v67, v105
	v_sub_f16_e32 v67, v104, v105
	v_sub_f16_e32 v52, v102, v103
	;; [unrolled: 1-line block ×4, first 2 shown]
	v_add_f16_e32 v41, v41, v108
	v_add_f16_e32 v67, v67, v69
	v_fmamk_f16 v69, v70, 0x3b9c, v29
	v_fmamk_f16 v73, v52, 0xbb9c, v86
	v_fmac_f16_e32 v86, 0x3b9c, v52
	v_fmac_f16_e32 v29, 0xbb9c, v70
	v_add_f16_e32 v71, v71, v72
	v_fmac_f16_e32 v69, 0x38b4, v52
	v_fmac_f16_e32 v73, 0x38b4, v70
	;; [unrolled: 1-line block ×4, first 2 shown]
	v_add_f16_e32 v41, v41, v109
	v_fmac_f16_e32 v69, 0x34f2, v67
	v_fmac_f16_e32 v73, 0x34f2, v71
	;; [unrolled: 1-line block ×4, first 2 shown]
	ds_write_b16 v68, v41
	ds_write_b16 v68, v69 offset:20
	ds_write_b16 v68, v73 offset:40
	;; [unrolled: 1-line block ×3, first 2 shown]
	v_add_f16_e32 v41, v113, v114
	v_add_f16_e32 v52, v99, v115
	;; [unrolled: 1-line block ×3, first 2 shown]
	ds_write_b16 v68, v29 offset:80
	v_sub_f16_e32 v68, v115, v114
	v_fma_f16 v41, -0.5, v41, v87
	v_fmac_f16_e32 v87, -0.5, v52
	v_add_f16_e32 v52, v67, v113
	v_sub_f16_e32 v67, v99, v113
	v_sub_f16_e32 v69, v107, v112
	;; [unrolled: 1-line block ×5, first 2 shown]
	v_add_f16_e32 v67, v67, v68
	v_fmamk_f16 v68, v69, 0x3b9c, v41
	v_fmamk_f16 v72, v29, 0xbb9c, v87
	v_fmac_f16_e32 v87, 0x3b9c, v29
	v_add_f16_e32 v52, v52, v114
	v_fmac_f16_e32 v41, 0xbb9c, v69
	v_fmac_f16_e32 v68, 0x38b4, v29
	v_add_f16_e32 v70, v70, v71
	v_fmac_f16_e32 v72, 0x38b4, v69
	v_fmac_f16_e32 v87, 0xb8b4, v69
	;; [unrolled: 1-line block ×3, first 2 shown]
	v_add_f16_e32 v29, v52, v115
	v_fmac_f16_e32 v68, 0x34f2, v67
	v_fmac_f16_e32 v72, 0x34f2, v70
	;; [unrolled: 1-line block ×4, first 2 shown]
	ds_write_b16 v38, v29
	ds_write_b16 v38, v68 offset:20
	ds_write_b16 v38, v72 offset:40
	;; [unrolled: 1-line block ×3, first 2 shown]
	v_add_f16_e32 v29, v81, v78
	v_add_f16_e32 v67, v79, v77
	v_sub_f16_e32 v52, v77, v78
	ds_write_b16 v38, v41 offset:80
	v_sub_f16_e32 v38, v83, v85
	v_sub_f16_e32 v41, v79, v81
	v_fma_f16 v29, -0.5, v29, v2
	v_add_f16_e32 v68, v2, v79
	v_sub_f16_e32 v69, v82, v84
	v_fmac_f16_e32 v2, -0.5, v67
	v_add_f16_e32 v41, v41, v52
	v_fmamk_f16 v52, v38, 0x3b9c, v29
	v_add_f16_e32 v67, v68, v81
	v_sub_f16_e32 v68, v81, v79
	v_fmac_f16_e32 v29, 0xbb9c, v38
	v_sub_f16_e32 v70, v78, v77
	v_fmamk_f16 v71, v69, 0xbb9c, v2
	v_fmac_f16_e32 v2, 0x3b9c, v69
	v_fmac_f16_e32 v52, 0x38b4, v69
	v_add_f16_e32 v67, v67, v78
	v_fmac_f16_e32 v29, 0xb8b4, v69
	v_add_f16_e32 v68, v68, v70
	v_fmac_f16_e32 v71, 0x38b4, v38
	v_fmac_f16_e32 v2, 0xb8b4, v38
	v_add_f16_e32 v38, v67, v77
	v_fmac_f16_e32 v52, 0x34f2, v41
	v_fmac_f16_e32 v29, 0x34f2, v41
	;; [unrolled: 1-line block ×3, first 2 shown]
	v_add_f16_e32 v41, v63, v21
	v_fmac_f16_e32 v2, 0x34f2, v68
	v_sub_f16_e32 v67, v23, v63
	v_sub_f16_e32 v68, v22, v21
	v_add_f16_e32 v69, v23, v22
	v_add_f16_e32 v70, v1, v23
	v_fma_f16 v41, -0.5, v41, v1
	v_sub_f16_e32 v65, v65, v66
	v_add_f16_e32 v66, v67, v68
	v_fmac_f16_e32 v1, -0.5, v69
	v_add_f16_e32 v68, v70, v63
	v_sub_f16_e32 v64, v64, v76
	v_sub_f16_e32 v23, v63, v23
	;; [unrolled: 1-line block ×3, first 2 shown]
	v_fmamk_f16 v69, v65, 0xbb9c, v1
	v_fmac_f16_e32 v1, 0x3b9c, v65
	v_add_f16_e32 v21, v68, v21
	v_fmamk_f16 v67, v64, 0x3b9c, v41
	v_add_f16_e32 v23, v23, v63
	v_fmac_f16_e32 v69, 0x38b4, v64
	v_fmac_f16_e32 v1, 0xb8b4, v64
	v_add_f16_e32 v21, v21, v22
	v_add_f16_e32 v22, v7, v3
	;; [unrolled: 1-line block ×3, first 2 shown]
	v_fmac_f16_e32 v41, 0xbb9c, v64
	v_fmac_f16_e32 v69, 0x34f2, v23
	;; [unrolled: 1-line block ×3, first 2 shown]
	v_sub_f16_e32 v8, v8, v20
	v_sub_f16_e32 v20, v4, v7
	;; [unrolled: 1-line block ×3, first 2 shown]
	v_fma_f16 v22, -0.5, v22, v80
	v_add_f16_e32 v64, v80, v4
	v_sub_f16_e32 v6, v6, v18
	v_fmac_f16_e32 v80, -0.5, v63
	v_fmac_f16_e32 v67, 0x38b4, v65
	v_fmac_f16_e32 v41, 0xb8b4, v65
	v_add_f16_e32 v18, v20, v23
	v_fmamk_f16 v20, v8, 0x3b9c, v22
	v_add_f16_e32 v23, v64, v7
	v_sub_f16_e32 v4, v7, v4
	v_fmac_f16_e32 v22, 0xbb9c, v8
	v_sub_f16_e32 v7, v3, v5
	v_fmamk_f16 v65, v6, 0xbb9c, v80
	v_fmac_f16_e32 v80, 0x3b9c, v6
	v_add_f16_e32 v3, v23, v3
	v_fmac_f16_e32 v22, 0xb8b4, v6
	v_add_f16_e32 v4, v4, v7
	v_fmac_f16_e32 v65, 0x38b4, v8
	v_fmac_f16_e32 v20, 0x38b4, v6
	;; [unrolled: 1-line block ×4, first 2 shown]
	v_add_f16_e32 v3, v3, v5
	v_fmac_f16_e32 v22, 0x34f2, v18
	v_fmac_f16_e32 v65, 0x34f2, v4
	;; [unrolled: 1-line block ×5, first 2 shown]
	ds_write_b16 v39, v38
	ds_write_b16 v39, v52 offset:20
	ds_write_b16 v39, v71 offset:40
	;; [unrolled: 1-line block ×4, first 2 shown]
	ds_write_b16 v37, v21
	ds_write_b16 v37, v67 offset:20
	ds_write_b16 v37, v69 offset:40
	;; [unrolled: 1-line block ×4, first 2 shown]
	v_mov_b32_e32 v81, 0x147b
	ds_write_b16 v36, v3
	ds_write_b16 v36, v20 offset:20
	ds_write_b16 v36, v65 offset:40
	;; [unrolled: 1-line block ×4, first 2 shown]
	v_lshrrev_b16 v22, 1, v32
	v_add_nc_u32_e32 v38, 0x32a, v24
	v_lshrrev_b16 v1, 1, v33
	v_lshrrev_b16 v20, 1, v25
	v_mul_lo_u16 v5, v28, 41
	v_mul_u32_u24_sdwa v23, v22, v81 dst_sel:DWORD dst_unused:UNUSED_PAD src0_sel:WORD_0 src1_sel:DWORD
	v_lshrrev_b16 v52, 1, v38
	v_mul_u32_u24_sdwa v3, v1, v81 dst_sel:DWORD dst_unused:UNUSED_PAD src0_sel:WORD_0 src1_sel:DWORD
	v_mul_u32_u24_sdwa v4, v20, v81 dst_sel:DWORD dst_unused:UNUSED_PAD src0_sel:WORD_0 src1_sel:DWORD
	v_lshrrev_b16 v63, 11, v5
	v_lshrrev_b32_e32 v73, 17, v23
	v_mul_u32_u24_sdwa v23, v52, v81 dst_sel:DWORD dst_unused:UNUSED_PAD src0_sel:WORD_0 src1_sel:DWORD
	v_lshrrev_b16 v18, 1, v35
	v_lshrrev_b32_e32 v67, 17, v3
	v_lshrrev_b32_e32 v65, 17, v4
	v_mul_lo_u16 v2, v63, 50
	v_lshrrev_b32_e32 v74, 17, v23
	v_mul_u32_u24_sdwa v3, v18, v81 dst_sel:DWORD dst_unused:UNUSED_PAD src0_sel:WORD_0 src1_sel:DWORD
	v_mul_lo_u16 v5, v67, 50
	v_mul_lo_u16 v4, v65, 50
	v_sub_nc_u16 v64, v24, v2
	v_mul_lo_u16 v23, v74, 50
	v_mov_b32_e32 v41, 3
	v_lshrrev_b32_e32 v66, 17, v3
	v_sub_nc_u16 v68, v33, v5
	v_sub_nc_u16 v69, v25, v4
	;; [unrolled: 1-line block ×3, first 2 shown]
	v_lshlrev_b32_sdwa v1, v41, v64 dst_sel:DWORD dst_unused:UNUSED_PAD src0_sel:DWORD src1_sel:BYTE_0
	v_mul_lo_u16 v3, v66, 50
	v_lshlrev_b32_sdwa v5, v41, v68 dst_sel:DWORD dst_unused:UNUSED_PAD src0_sel:DWORD src1_sel:WORD_0
	v_lshrrev_b16 v21, 1, v31
	v_lshlrev_b32_sdwa v7, v41, v69 dst_sel:DWORD dst_unused:UNUSED_PAD src0_sel:DWORD src1_sel:WORD_0
	v_add_nc_u32_e32 v36, 0x3b1, v24
	v_lshlrev_b32_sdwa v80, v41, v78 dst_sel:DWORD dst_unused:UNUSED_PAD src0_sel:DWORD src1_sel:WORD_0
	s_waitcnt lgkmcnt(0)
	s_barrier
	buffer_gl0_inv
	global_load_dwordx2 v[1:2], v1, s[8:9] offset:160
	v_sub_nc_u16 v70, v35, v3
	s_clause 0x2
	global_load_dwordx2 v[3:4], v5, s[8:9] offset:160
	global_load_dwordx2 v[7:8], v7, s[8:9] offset:160
	;; [unrolled: 1-line block ×3, first 2 shown]
	v_mul_u32_u24_sdwa v5, v21, v81 dst_sel:DWORD dst_unused:UNUSED_PAD src0_sel:WORD_0 src1_sel:DWORD
	v_lshrrev_b16 v28, 1, v36
	v_lshlrev_b32_sdwa v6, v41, v70 dst_sel:DWORD dst_unused:UNUSED_PAD src0_sel:DWORD src1_sel:WORD_0
	v_lshrrev_b32_e32 v71, 17, v5
	v_mul_u32_u24_sdwa v37, v28, v81 dst_sel:DWORD dst_unused:UNUSED_PAD src0_sel:WORD_0 src1_sel:DWORD
	global_load_dwordx2 v[5:6], v6, s[8:9] offset:160
	v_mul_lo_u16 v29, v71, 50
	v_lshrrev_b32_e32 v72, 17, v37
	v_sub_nc_u16 v75, v31, v29
	v_mul_lo_u16 v29, v73, 50
	v_mul_lo_u16 v37, v72, 50
	v_lshlrev_b32_sdwa v39, v41, v75 dst_sel:DWORD dst_unused:UNUSED_PAD src0_sel:DWORD src1_sel:WORD_0
	v_sub_nc_u16 v76, v32, v29
	v_sub_nc_u16 v77, v36, v37
	v_add_nc_u32_e32 v37, 0x4bf, v24
	global_load_dwordx2 v[83:84], v39, s[8:9] offset:160
	v_lshlrev_b32_sdwa v29, v41, v76 dst_sel:DWORD dst_unused:UNUSED_PAD src0_sel:DWORD src1_sel:WORD_0
	v_lshlrev_b32_sdwa v82, v41, v77 dst_sel:DWORD dst_unused:UNUSED_PAD src0_sel:DWORD src1_sel:WORD_0
	s_clause 0x1
	global_load_dwordx2 v[89:90], v82, s[8:9] offset:160
	global_load_dwordx2 v[85:86], v29, s[8:9] offset:160
	v_add_nc_u32_e32 v39, 0x438, v24
	v_lshrrev_b16 v29, 1, v37
	v_lshrrev_b16 v23, 1, v39
	v_mul_u32_u24_sdwa v80, v29, v81 dst_sel:DWORD dst_unused:UNUSED_PAD src0_sel:WORD_0 src1_sel:DWORD
	v_mul_u32_u24_sdwa v79, v23, v81 dst_sel:DWORD dst_unused:UNUSED_PAD src0_sel:WORD_0 src1_sel:DWORD
	v_lshrrev_b32_e32 v80, 17, v80
	v_lshrrev_b32_e32 v79, 17, v79
	v_mul_lo_u16 v81, v79, 50
	v_sub_nc_u16 v82, v39, v81
	v_mul_lo_u16 v81, v80, 50
	v_lshlrev_b32_sdwa v91, v41, v82 dst_sel:DWORD dst_unused:UNUSED_PAD src0_sel:DWORD src1_sel:WORD_0
	v_sub_nc_u16 v81, v37, v81
	global_load_dwordx2 v[91:92], v91, s[8:9] offset:160
	v_lshlrev_b32_sdwa v93, v41, v81 dst_sel:DWORD dst_unused:UNUSED_PAD src0_sel:DWORD src1_sel:WORD_0
	global_load_dwordx2 v[93:94], v93, s[8:9] offset:160
	ds_read_u16 v95, v30 offset:2700
	ds_read_u16 v96, v30 offset:5400
	;; [unrolled: 1-line block ×4, first 2 shown]
	s_waitcnt vmcnt(9) lgkmcnt(3)
	v_mul_f16_sdwa v98, v95, v1 dst_sel:DWORD dst_unused:UNUSED_PAD src0_sel:DWORD src1_sel:WORD_1
	v_mul_f16_sdwa v100, v60, v1 dst_sel:DWORD dst_unused:UNUSED_PAD src0_sel:DWORD src1_sel:WORD_1
	s_waitcnt lgkmcnt(2)
	v_mul_f16_sdwa v108, v96, v2 dst_sel:DWORD dst_unused:UNUSED_PAD src0_sel:DWORD src1_sel:WORD_1
	v_mul_f16_sdwa v109, v62, v2 dst_sel:DWORD dst_unused:UNUSED_PAD src0_sel:DWORD src1_sel:WORD_1
	s_waitcnt vmcnt(8) lgkmcnt(0)
	v_mul_f16_sdwa v116, v99, v3 dst_sel:DWORD dst_unused:UNUSED_PAD src0_sel:DWORD src1_sel:WORD_1
	v_fmac_f16_e32 v98, v60, v1
	ds_read_u16 v60, v30 offset:3240
	ds_read_u16 v101, v30 offset:5670
	;; [unrolled: 1-line block ×14, first 2 shown]
	v_fmac_f16_e32 v108, v62, v2
	v_mul_f16_sdwa v62, v59, v3 dst_sel:DWORD dst_unused:UNUSED_PAD src0_sel:DWORD src1_sel:WORD_1
	v_fma_f16 v1, v95, v1, -v100
	v_fma_f16 v2, v96, v2, -v109
	v_fmac_f16_e32 v116, v59, v3
	v_mul_f16_sdwa v59, v61, v4 dst_sel:DWORD dst_unused:UNUSED_PAD src0_sel:DWORD src1_sel:WORD_1
	v_fma_f16 v3, v99, v3, -v62
	s_waitcnt vmcnt(5)
	v_mul_f16_sdwa v62, v58, v5 dst_sel:DWORD dst_unused:UNUSED_PAD src0_sel:DWORD src1_sel:WORD_1
	s_waitcnt lgkmcnt(13)
	v_mul_f16_sdwa v96, v60, v5 dst_sel:DWORD dst_unused:UNUSED_PAD src0_sel:DWORD src1_sel:WORD_1
	s_waitcnt lgkmcnt(12)
	;; [unrolled: 2-line block ×4, first 2 shown]
	v_mul_f16_sdwa v100, v110, v7 dst_sel:DWORD dst_unused:UNUSED_PAD src0_sel:DWORD src1_sel:WORD_1
	v_fmac_f16_e32 v96, v58, v5
	v_fmac_f16_e32 v95, v61, v4
	v_fma_f16 v4, v101, v4, -v59
	v_mul_f16_sdwa v58, v56, v6 dst_sel:DWORD dst_unused:UNUSED_PAD src0_sel:DWORD src1_sel:WORD_1
	v_fmac_f16_e32 v99, v56, v6
	v_mul_f16_sdwa v101, v103, v8 dst_sel:DWORD dst_unused:UNUSED_PAD src0_sel:DWORD src1_sel:WORD_1
	v_mul_f16_sdwa v56, v54, v8 dst_sel:DWORD dst_unused:UNUSED_PAD src0_sel:DWORD src1_sel:WORD_1
	;; [unrolled: 1-line block ×3, first 2 shown]
	v_fma_f16 v6, v102, v6, -v58
	s_waitcnt vmcnt(4) lgkmcnt(4)
	v_mul_f16_sdwa v102, v111, v83 dst_sel:DWORD dst_unused:UNUSED_PAD src0_sel:DWORD src1_sel:WORD_1
	v_fmac_f16_e32 v101, v54, v8
	v_mul_f16_sdwa v54, v55, v83 dst_sel:DWORD dst_unused:UNUSED_PAD src0_sel:DWORD src1_sel:WORD_1
	v_mul_f16_sdwa v109, v104, v84 dst_sel:DWORD dst_unused:UNUSED_PAD src0_sel:DWORD src1_sel:WORD_1
	v_fma_f16 v8, v103, v8, -v56
	v_mul_f16_sdwa v56, v51, v84 dst_sel:DWORD dst_unused:UNUSED_PAD src0_sel:DWORD src1_sel:WORD_1
	v_fmac_f16_e32 v100, v57, v7
	v_fma_f16 v7, v110, v7, -v59
	v_fmac_f16_e32 v102, v55, v83
	v_fma_f16 v83, v111, v83, -v54
	v_fmac_f16_e32 v109, v51, v84
	s_waitcnt vmcnt(2) lgkmcnt(3)
	v_mul_f16_sdwa v103, v112, v85 dst_sel:DWORD dst_unused:UNUSED_PAD src0_sel:DWORD src1_sel:WORD_1
	v_fma_f16 v84, v104, v84, -v56
	v_mul_f16_sdwa v51, v53, v85 dst_sel:DWORD dst_unused:UNUSED_PAD src0_sel:DWORD src1_sel:WORD_1
	v_mul_f16_sdwa v104, v105, v86 dst_sel:DWORD dst_unused:UNUSED_PAD src0_sel:DWORD src1_sel:WORD_1
	;; [unrolled: 1-line block ×4, first 2 shown]
	v_fmac_f16_e32 v103, v53, v85
	ds_read_u16 v53, v30 offset:7290
	v_fma_f16 v85, v112, v85, -v51
	ds_read_u16 v51, v30 offset:7560
	v_fmac_f16_e32 v104, v49, v86
	v_fma_f16 v86, v105, v86, -v54
	s_waitcnt lgkmcnt(4)
	v_mul_f16_sdwa v105, v113, v87 dst_sel:DWORD dst_unused:UNUSED_PAD src0_sel:DWORD src1_sel:WORD_1
	v_mul_f16_sdwa v49, v50, v87 dst_sel:DWORD dst_unused:UNUSED_PAD src0_sel:DWORD src1_sel:WORD_1
	;; [unrolled: 1-line block ×3, first 2 shown]
	s_waitcnt lgkmcnt(3)
	v_mul_f16_sdwa v111, v114, v89 dst_sel:DWORD dst_unused:UNUSED_PAD src0_sel:DWORD src1_sel:WORD_1
	v_fmac_f16_e32 v110, v47, v88
	v_mul_f16_sdwa v47, v48, v89 dst_sel:DWORD dst_unused:UNUSED_PAD src0_sel:DWORD src1_sel:WORD_1
	v_fmac_f16_e32 v105, v50, v87
	v_fma_f16 v87, v113, v87, -v49
	v_fmac_f16_e32 v111, v48, v89
	v_fma_f16 v88, v106, v88, -v54
	v_fma_f16 v89, v114, v89, -v47
	ds_read_u16 v48, v30 offset:7830
	ds_read_u16 v106, v34 offset:2430
	;; [unrolled: 1-line block ×4, first 2 shown]
	v_fma_f16 v5, v60, v5, -v62
	v_mul_f16_sdwa v47, v46, v90 dst_sel:DWORD dst_unused:UNUSED_PAD src0_sel:DWORD src1_sel:WORD_1
	v_add_f16_e32 v50, v102, v109
	s_waitcnt lgkmcnt(5)
	v_mul_f16_sdwa v117, v53, v90 dst_sel:DWORD dst_unused:UNUSED_PAD src0_sel:DWORD src1_sel:WORD_1
	v_add_f16_e32 v55, v105, v110
	v_add_f16_e32 v54, v10, v103
	s_waitcnt vmcnt(1)
	v_mul_f16_sdwa v114, v115, v91 dst_sel:DWORD dst_unused:UNUSED_PAD src0_sel:DWORD src1_sel:WORD_1
	v_mul_f16_sdwa v49, v45, v91 dst_sel:DWORD dst_unused:UNUSED_PAD src0_sel:DWORD src1_sel:WORD_1
	s_waitcnt lgkmcnt(4)
	v_mul_f16_sdwa v118, v51, v92 dst_sel:DWORD dst_unused:UNUSED_PAD src0_sel:DWORD src1_sel:WORD_1
	v_fmac_f16_e32 v117, v46, v90
	v_add_f16_e32 v46, v116, v95
	v_fmac_f16_e32 v114, v45, v91
	v_fma_f16 v91, v115, v91, -v49
	ds_read_u16 v115, v30
	s_waitcnt vmcnt(0)
	v_mul_f16_sdwa v119, v107, v93 dst_sel:DWORD dst_unused:UNUSED_PAD src0_sel:DWORD src1_sel:WORD_1
	v_mul_f16_sdwa v45, v44, v92 dst_sel:DWORD dst_unused:UNUSED_PAD src0_sel:DWORD src1_sel:WORD_1
	v_fmac_f16_e32 v118, v44, v92
	v_mul_f16_sdwa v44, v42, v93 dst_sel:DWORD dst_unused:UNUSED_PAD src0_sel:DWORD src1_sel:WORD_1
	s_waitcnt lgkmcnt(4)
	v_mul_f16_sdwa v120, v48, v94 dst_sel:DWORD dst_unused:UNUSED_PAD src0_sel:DWORD src1_sel:WORD_1
	v_fmac_f16_e32 v119, v42, v93
	v_add_f16_e32 v42, v98, v108
	v_fma_f16 v92, v51, v92, -v45
	v_mul_f16_sdwa v45, v43, v94 dst_sel:DWORD dst_unused:UNUSED_PAD src0_sel:DWORD src1_sel:WORD_1
	v_fma_f16 v93, v107, v93, -v44
	v_fmac_f16_e32 v120, v43, v94
	v_add_f16_e32 v43, v1, v2
	v_add_f16_e32 v44, v19, v98
	v_fmac_f16_e32 v19, -0.5, v42
	v_sub_f16_e32 v42, v1, v2
	v_fma_f16 v94, v48, v94, -v45
	v_add_f16_e32 v48, v100, v101
	v_add_f16_e32 v51, v103, v104
	v_fma_f16 v90, v53, v90, -v47
	s_waitcnt lgkmcnt(0)
	v_add_f16_e32 v1, v115, v1
	v_fmac_f16_e32 v115, -0.5, v43
	v_add_f16_e32 v43, v44, v108
	v_sub_f16_e32 v44, v98, v108
	v_fmamk_f16 v45, v42, 0xbaee, v19
	v_add_f16_e32 v1, v1, v2
	v_add_f16_e32 v2, v96, v99
	v_fmac_f16_e32 v19, 0x3aee, v42
	v_add_f16_e32 v42, v16, v116
	v_fmac_f16_e32 v16, -0.5, v46
	v_sub_f16_e32 v46, v3, v4
	v_add_f16_e32 v47, v17, v96
	v_fmac_f16_e32 v17, -0.5, v2
	v_sub_f16_e32 v2, v5, v6
	v_add_f16_e32 v49, v14, v100
	v_fmac_f16_e32 v14, -0.5, v48
	v_sub_f16_e32 v48, v7, v8
	v_add_f16_e32 v53, v12, v102
	v_fmac_f16_e32 v12, -0.5, v50
	v_sub_f16_e32 v50, v83, v84
	v_fmac_f16_e32 v10, -0.5, v51
	v_sub_f16_e32 v51, v85, v86
	v_add_f16_e32 v56, v111, v117
	v_add_f16_e32 v57, v9, v105
	v_fmac_f16_e32 v9, -0.5, v55
	v_sub_f16_e32 v55, v87, v88
	v_fmamk_f16 v98, v44, 0x3aee, v115
	v_fmac_f16_e32 v115, 0xbaee, v44
	v_fmamk_f16 v44, v46, 0xbaee, v16
	v_fmac_f16_e32 v16, 0x3aee, v46
	;; [unrolled: 2-line block ×5, first 2 shown]
	v_fmamk_f16 v50, v51, 0xbaee, v10
	v_add_f16_e32 v58, v15, v111
	v_fmac_f16_e32 v15, -0.5, v56
	v_sub_f16_e32 v56, v89, v90
	v_fmac_f16_e32 v10, 0x3aee, v51
	v_fmamk_f16 v51, v55, 0xbaee, v9
	v_fmac_f16_e32 v9, 0x3aee, v55
	v_add_f16_e32 v55, v114, v118
	v_fmamk_f16 v59, v56, 0xbaee, v15
	v_fmac_f16_e32 v15, 0x3aee, v56
	v_add_f16_e32 v56, v13, v114
	v_add_f16_e32 v60, v119, v120
	v_fmac_f16_e32 v13, -0.5, v55
	v_mov_b32_e32 v55, 0x12c
	v_sub_f16_e32 v61, v91, v92
	v_add_f16_e32 v62, v11, v119
	v_fmac_f16_e32 v11, -0.5, v60
	v_sub_f16_e32 v60, v93, v94
	v_mul_u32_u24_sdwa v55, v63, v55 dst_sel:DWORD dst_unused:UNUSED_PAD src0_sel:WORD_0 src1_sel:DWORD
	v_lshlrev_b32_sdwa v63, v40, v64 dst_sel:DWORD dst_unused:UNUSED_PAD src0_sel:DWORD src1_sel:BYTE_0
	v_fmamk_f16 v64, v61, 0xbaee, v13
	v_fmac_f16_e32 v13, 0x3aee, v61
	v_fmamk_f16 v61, v60, 0xbaee, v11
	v_fmac_f16_e32 v11, 0x3aee, v60
	v_add3_u32 v108, 0, v55, v63
	v_lshlrev_b32_sdwa v55, v40, v68 dst_sel:DWORD dst_unused:UNUSED_PAD src0_sel:DWORD src1_sel:WORD_0
	v_mul_u32_u24_e32 v60, 0x12c, v67
	ds_read_u16 v107, v30 offset:270
	ds_read_u16 v121, v30 offset:540
	;; [unrolled: 1-line block ×5, first 2 shown]
	s_waitcnt lgkmcnt(0)
	s_barrier
	buffer_gl0_inv
	ds_write_b16 v108, v43
	ds_write_b16 v108, v45 offset:100
	v_add3_u32 v125, 0, v60, v55
	v_add_f16_e32 v42, v42, v95
	v_lshlrev_b32_sdwa v43, v40, v70 dst_sel:DWORD dst_unused:UNUSED_PAD src0_sel:DWORD src1_sel:WORD_0
	v_mul_u32_u24_e32 v45, 0x12c, v66
	ds_write_b16 v108, v19 offset:200
	v_lshlrev_b32_sdwa v19, v40, v69 dst_sel:DWORD dst_unused:UNUSED_PAD src0_sel:DWORD src1_sel:WORD_0
	v_mul_u32_u24_e32 v55, 0x12c, v65
	ds_write_b16 v125, v42
	v_add3_u32 v126, 0, v45, v43
	v_add_f16_e32 v42, v47, v99
	v_add_f16_e32 v43, v49, v101
	v_add3_u32 v19, 0, v55, v19
	ds_write_b16 v125, v44 offset:100
	ds_write_b16 v125, v16 offset:200
	ds_write_b16 v126, v42
	ds_write_b16 v126, v46 offset:100
	ds_write_b16 v126, v17 offset:200
	ds_write_b16 v19, v43
	v_lshlrev_b32_sdwa v16, v40, v75 dst_sel:DWORD dst_unused:UNUSED_PAD src0_sel:DWORD src1_sel:WORD_0
	v_mul_u32_u24_e32 v17, 0x12c, v71
	v_lshlrev_b32_sdwa v42, v40, v76 dst_sel:DWORD dst_unused:UNUSED_PAD src0_sel:DWORD src1_sel:WORD_0
	v_mul_u32_u24_e32 v43, 0x12c, v73
	ds_write_b16 v19, v2 offset:100
	ds_write_b16 v19, v14 offset:200
	v_add_f16_e32 v14, v53, v109
	v_add3_u32 v2, 0, v17, v16
	v_add_f16_e32 v17, v54, v104
	v_add3_u32 v16, 0, v43, v42
	v_lshlrev_b32_sdwa v42, v40, v78 dst_sel:DWORD dst_unused:UNUSED_PAD src0_sel:DWORD src1_sel:WORD_0
	v_mul_u32_u24_e32 v43, 0x12c, v74
	ds_write_b16 v2, v14
	ds_write_b16 v2, v48 offset:100
	ds_write_b16 v2, v12 offset:200
	ds_write_b16 v16, v17
	v_lshlrev_b32_sdwa v17, v40, v77 dst_sel:DWORD dst_unused:UNUSED_PAD src0_sel:DWORD src1_sel:WORD_0
	v_add_f16_e32 v14, v57, v110
	v_add3_u32 v12, 0, v43, v42
	v_mul_u32_u24_e32 v42, 0x12c, v72
	ds_write_b16 v16, v50 offset:100
	ds_write_b16 v16, v10 offset:200
	ds_write_b16 v12, v14
	ds_write_b16 v12, v51 offset:100
	v_add_f16_e32 v14, v58, v117
	ds_write_b16 v12, v9 offset:200
	v_add3_u32 v10, 0, v42, v17
	v_lshlrev_b32_sdwa v17, v40, v82 dst_sel:DWORD dst_unused:UNUSED_PAD src0_sel:DWORD src1_sel:WORD_0
	v_mul_u32_u24_e32 v42, 0x12c, v79
	v_lshlrev_b32_sdwa v9, v40, v81 dst_sel:DWORD dst_unused:UNUSED_PAD src0_sel:DWORD src1_sel:WORD_0
	v_mul_u32_u24_e32 v43, 0x12c, v80
	ds_write_b16 v10, v14
	ds_write_b16 v10, v59 offset:100
	v_add3_u32 v14, 0, v42, v17
	v_add_f16_e32 v17, v56, v118
	v_add3_u32 v9, 0, v43, v9
	v_add_f16_e32 v42, v62, v120
	ds_write_b16 v10, v15 offset:200
	ds_write_b16 v14, v17
	ds_write_b16 v14, v64 offset:100
	ds_write_b16 v14, v13 offset:200
	ds_write_b16 v9, v42
	ds_write_b16 v9, v61 offset:100
	ds_write_b16 v9, v11 offset:200
	v_add_f16_e32 v11, v3, v4
	s_waitcnt lgkmcnt(0)
	s_barrier
	buffer_gl0_inv
	ds_read_u16 v51, v30
	ds_read_u16 v50, v30 offset:270
	ds_read_u16 v49, v30 offset:540
	;; [unrolled: 1-line block ×29, first 2 shown]
	s_waitcnt lgkmcnt(0)
	s_barrier
	buffer_gl0_inv
	ds_write_b16 v108, v1
	v_add_f16_e32 v1, v107, v3
	v_fmac_f16_e32 v107, -0.5, v11
	v_sub_f16_e32 v3, v116, v95
	ds_write_b16 v108, v98 offset:100
	ds_write_b16 v108, v115 offset:200
	v_add_f16_e32 v1, v1, v4
	v_add_f16_e32 v4, v5, v6
	v_fmamk_f16 v11, v3, 0x3aee, v107
	v_fmac_f16_e32 v107, 0xbaee, v3
	v_add_f16_e32 v3, v121, v5
	ds_write_b16 v125, v1
	v_fmac_f16_e32 v121, -0.5, v4
	v_sub_f16_e32 v1, v96, v99
	v_add_f16_e32 v4, v7, v8
	v_add_f16_e32 v3, v3, v6
	ds_write_b16 v125, v11 offset:100
	ds_write_b16 v125, v107 offset:200
	v_fmamk_f16 v5, v1, 0x3aee, v121
	v_fmac_f16_e32 v121, 0xbaee, v1
	ds_write_b16 v126, v3
	v_add_f16_e32 v1, v122, v7
	v_fmac_f16_e32 v122, -0.5, v4
	v_sub_f16_e32 v3, v100, v101
	ds_write_b16 v126, v5 offset:100
	ds_write_b16 v126, v121 offset:200
	v_add_f16_e32 v4, v83, v84
	v_add_f16_e32 v1, v1, v8
	v_add_nc_u32_e32 v6, -15, v24
	v_fmamk_f16 v5, v3, 0x3aee, v122
	v_fmac_f16_e32 v122, 0xbaee, v3
	v_add_f16_e32 v3, v123, v83
	ds_write_b16 v19, v1
	v_fmac_f16_e32 v123, -0.5, v4
	v_sub_f16_e32 v1, v102, v109
	v_add_f16_e32 v4, v85, v86
	v_add_f16_e32 v3, v3, v84
	ds_write_b16 v19, v5 offset:100
	ds_write_b16 v19, v122 offset:200
	v_fmamk_f16 v5, v1, 0x3aee, v123
	v_fmac_f16_e32 v123, 0xbaee, v1
	ds_write_b16 v2, v3
	v_add_f16_e32 v1, v124, v85
	v_fmac_f16_e32 v124, -0.5, v4
	v_sub_f16_e32 v3, v103, v104
	ds_write_b16 v2, v5 offset:100
	ds_write_b16 v2, v123 offset:200
	v_add_f16_e32 v2, v87, v88
	v_add_f16_e32 v1, v1, v86
	v_mov_b32_e32 v19, 0xda75
	v_fmamk_f16 v4, v3, 0x3aee, v124
	v_fmac_f16_e32 v124, 0xbaee, v3
	v_add_f16_e32 v3, v97, v87
	ds_write_b16 v16, v1
	v_fmac_f16_e32 v97, -0.5, v2
	v_sub_f16_e32 v1, v105, v110
	ds_write_b16 v16, v4 offset:100
	v_add_f16_e32 v2, v3, v88
	v_add_f16_e32 v3, v89, v90
	ds_write_b16 v16, v124 offset:200
	v_fmamk_f16 v4, v1, 0x3aee, v97
	v_fmac_f16_e32 v97, 0xbaee, v1
	ds_write_b16 v12, v2
	v_add_f16_e32 v1, v113, v89
	v_fmac_f16_e32 v113, -0.5, v3
	v_sub_f16_e32 v2, v111, v117
	ds_write_b16 v12, v4 offset:100
	ds_write_b16 v12, v97 offset:200
	v_add_f16_e32 v3, v91, v92
	v_add_f16_e32 v1, v1, v90
	v_mul_u32_u24_sdwa v8, v18, v19 dst_sel:DWORD dst_unused:UNUSED_PAD src0_sel:WORD_0 src1_sel:DWORD
	v_fmamk_f16 v4, v2, 0x3aee, v113
	v_fmac_f16_e32 v113, 0xbaee, v2
	v_add_f16_e32 v2, v112, v91
	ds_write_b16 v10, v1
	v_fmac_f16_e32 v112, -0.5, v3
	v_sub_f16_e32 v1, v114, v118
	v_add_f16_e32 v3, v93, v94
	v_add_f16_e32 v2, v2, v92
	ds_write_b16 v10, v4 offset:100
	ds_write_b16 v10, v113 offset:200
	v_fmamk_f16 v4, v1, 0x3aee, v112
	v_fmac_f16_e32 v112, 0xbaee, v1
	ds_write_b16 v14, v2
	v_add_f16_e32 v2, v106, v93
	v_fmac_f16_e32 v106, -0.5, v3
	v_sub_f16_e32 v3, v119, v120
	ds_write_b16 v14, v4 offset:100
	ds_write_b16 v14, v112 offset:200
	v_mov_b32_e32 v1, 0
	v_add_f16_e32 v4, v2, v94
	v_lshrrev_b32_e32 v73, 22, v8
	v_fmamk_f16 v5, v3, 0x3aee, v106
	v_fmac_f16_e32 v106, 0xbaee, v3
	ds_write_b16 v9, v4
	ds_write_b16 v9, v5 offset:100
	ds_write_b16 v9, v106 offset:200
	v_cndmask_b32_e64 v4, v6, v33, s0
	v_lshlrev_b64 v[2:3], 2, v[0:1]
	v_mov_b32_e32 v5, v1
	v_mul_u32_u24_sdwa v10, v20, v19 dst_sel:DWORD dst_unused:UNUSED_PAD src0_sel:WORD_0 src1_sel:DWORD
	v_mul_lo_u16 v11, 0x96, v73
	v_lshlrev_b32_e32 v4, 1, v4
	s_waitcnt lgkmcnt(0)
	v_add_co_u32 v2, s0, s8, v2
	v_sub_nc_u16 v74, v35, v11
	v_lshlrev_b64 v[8:9], 2, v[4:5]
	v_lshrrev_b32_e32 v5, 22, v10
	v_mul_u32_u24_sdwa v10, v21, v19 dst_sel:DWORD dst_unused:UNUSED_PAD src0_sel:WORD_0 src1_sel:DWORD
	v_add_co_ci_u32_e64 v3, s0, s9, v3, s0
	v_lshlrev_b32_sdwa v12, v41, v74 dst_sel:DWORD dst_unused:UNUSED_PAD src0_sel:DWORD src1_sel:WORD_0
	v_mul_lo_u16 v11, 0x96, v5
	v_lshrrev_b32_e32 v75, 22, v10
	s_barrier
	buffer_gl0_inv
	global_load_dwordx2 v[6:7], v[2:3], off offset:560
	v_sub_nc_u16 v76, v25, v11
	global_load_dwordx2 v[10:11], v12, s[8:9] offset:560
	v_mul_lo_u16 v12, 0x96, v75
	v_add_co_u32 v8, s0, s8, v8
	v_add_co_ci_u32_e64 v9, s0, s9, v9, s0
	v_sub_nc_u16 v78, v31, v12
	v_mul_u32_u24_sdwa v13, v22, v19 dst_sel:DWORD dst_unused:UNUSED_PAD src0_sel:WORD_0 src1_sel:DWORD
	v_lshlrev_b32_sdwa v14, v41, v76 dst_sel:DWORD dst_unused:UNUSED_PAD src0_sel:DWORD src1_sel:WORD_0
	global_load_dwordx2 v[8:9], v[8:9], off offset:560
	v_mul_u32_u24_sdwa v22, v23, v19 dst_sel:DWORD dst_unused:UNUSED_PAD src0_sel:WORD_0 src1_sel:DWORD
	v_lshlrev_b32_sdwa v16, v41, v78 dst_sel:DWORD dst_unused:UNUSED_PAD src0_sel:DWORD src1_sel:WORD_0
	v_lshrrev_b32_e32 v77, 22, v13
	global_load_dwordx2 v[12:13], v14, s[8:9] offset:560
	v_cmp_lt_u32_e64 s0, 14, v24
	v_lshrrev_b32_e32 v82, 22, v22
	global_load_dwordx2 v[16:17], v16, s[8:9] offset:560
	v_mul_u32_u24_sdwa v14, v52, v19 dst_sel:DWORD dst_unused:UNUSED_PAD src0_sel:WORD_0 src1_sel:DWORD
	v_mul_lo_u16 v15, 0x96, v77
	v_mul_u32_u24_e32 v73, 0x384, v73
	v_mul_lo_u16 v22, 0x96, v82
	v_mul_u32_u24_e32 v5, 0x384, v5
	v_lshrrev_b32_e32 v52, 22, v14
	v_sub_nc_u16 v81, v32, v15
	v_mul_u32_u24_sdwa v14, v28, v19 dst_sel:DWORD dst_unused:UNUSED_PAD src0_sel:WORD_0 src1_sel:DWORD
	v_sub_nc_u16 v85, v39, v22
	v_mul_lo_u16 v15, 0x96, v52
	v_lshlrev_b32_sdwa v18, v41, v81 dst_sel:DWORD dst_unused:UNUSED_PAD src0_sel:DWORD src1_sel:WORD_0
	v_lshrrev_b32_e32 v79, 22, v14
	v_sub_nc_u16 v80, v38, v15
	global_load_dwordx2 v[14:15], v18, s[8:9] offset:560
	v_lshlrev_b32_sdwa v20, v41, v80 dst_sel:DWORD dst_unused:UNUSED_PAD src0_sel:DWORD src1_sel:WORD_0
	global_load_dwordx2 v[20:21], v20, s[8:9] offset:560
	v_mul_lo_u16 v18, 0x96, v79
	v_sub_nc_u16 v84, v36, v18
	v_mul_u32_u24_sdwa v18, v29, v19 dst_sel:DWORD dst_unused:UNUSED_PAD src0_sel:WORD_0 src1_sel:DWORD
	v_lshlrev_b32_sdwa v19, v41, v84 dst_sel:DWORD dst_unused:UNUSED_PAD src0_sel:DWORD src1_sel:WORD_0
	v_lshrrev_b32_e32 v18, 22, v18
	global_load_dwordx2 v[28:29], v19, s[8:9] offset:560
	v_mul_lo_u16 v18, 0x96, v18
	v_lshlrev_b32_sdwa v19, v41, v85 dst_sel:DWORD dst_unused:UNUSED_PAD src0_sel:DWORD src1_sel:WORD_0
	v_sub_nc_u16 v18, v37, v18
	global_load_dwordx2 v[22:23], v19, s[8:9] offset:560
	v_and_b32_e32 v83, 0xffff, v18
	v_lshlrev_b32_e32 v18, 3, v83
	global_load_dwordx2 v[18:19], v18, s[8:9] offset:560
	ds_read_u16 v86, v30 offset:2700
	ds_read_u16 v87, v30 offset:5400
	;; [unrolled: 1-line block ×5, first 2 shown]
	s_waitcnt vmcnt(9) lgkmcnt(4)
	v_mul_f16_sdwa v89, v86, v6 dst_sel:DWORD dst_unused:UNUSED_PAD src0_sel:DWORD src1_sel:WORD_1
	v_mul_f16_sdwa v90, v70, v6 dst_sel:DWORD dst_unused:UNUSED_PAD src0_sel:DWORD src1_sel:WORD_1
	s_waitcnt lgkmcnt(3)
	v_mul_f16_sdwa v97, v87, v7 dst_sel:DWORD dst_unused:UNUSED_PAD src0_sel:DWORD src1_sel:WORD_1
	v_mul_f16_sdwa v98, v72, v7 dst_sel:DWORD dst_unused:UNUSED_PAD src0_sel:DWORD src1_sel:WORD_1
	v_fmac_f16_e32 v89, v70, v6
	v_fma_f16 v6, v86, v6, -v90
	ds_read_u16 v70, v30 offset:3240
	ds_read_u16 v86, v30 offset:5940
	;; [unrolled: 1-line block ×13, first 2 shown]
	v_fmac_f16_e32 v97, v72, v7
	v_fma_f16 v7, v87, v7, -v98
	s_waitcnt vmcnt(7) lgkmcnt(14)
	v_mul_f16_sdwa v105, v91, v8 dst_sel:DWORD dst_unused:UNUSED_PAD src0_sel:DWORD src1_sel:WORD_1
	v_mul_f16_sdwa v72, v69, v8 dst_sel:DWORD dst_unused:UNUSED_PAD src0_sel:DWORD src1_sel:WORD_1
	s_waitcnt lgkmcnt(13)
	v_mul_f16_sdwa v87, v92, v9 dst_sel:DWORD dst_unused:UNUSED_PAD src0_sel:DWORD src1_sel:WORD_1
	v_fmac_f16_e32 v105, v69, v8
	v_mul_f16_sdwa v69, v71, v9 dst_sel:DWORD dst_unused:UNUSED_PAD src0_sel:DWORD src1_sel:WORD_1
	v_fma_f16 v8, v91, v8, -v72
	v_fmac_f16_e32 v87, v71, v9
	v_mul_f16_sdwa v71, v68, v10 dst_sel:DWORD dst_unused:UNUSED_PAD src0_sel:DWORD src1_sel:WORD_1
	s_waitcnt lgkmcnt(12)
	v_mul_f16_sdwa v98, v70, v10 dst_sel:DWORD dst_unused:UNUSED_PAD src0_sel:DWORD src1_sel:WORD_1
	v_fma_f16 v9, v92, v9, -v69
	v_mul_f16_sdwa v69, v66, v11 dst_sel:DWORD dst_unused:UNUSED_PAD src0_sel:DWORD src1_sel:WORD_1
	s_waitcnt vmcnt(6) lgkmcnt(5)
	v_mul_f16_sdwa v72, v99, v12 dst_sel:DWORD dst_unused:UNUSED_PAD src0_sel:DWORD src1_sel:WORD_1
	v_fma_f16 v70, v70, v10, -v71
	v_fmac_f16_e32 v98, v68, v10
	v_mul_f16_sdwa v68, v86, v11 dst_sel:DWORD dst_unused:UNUSED_PAD src0_sel:DWORD src1_sel:WORD_1
	v_mul_f16_sdwa v10, v67, v12 dst_sel:DWORD dst_unused:UNUSED_PAD src0_sel:DWORD src1_sel:WORD_1
	v_fmac_f16_e32 v72, v67, v12
	v_mul_f16_sdwa v67, v90, v13 dst_sel:DWORD dst_unused:UNUSED_PAD src0_sel:DWORD src1_sel:WORD_1
	v_fmac_f16_e32 v68, v66, v11
	v_fma_f16 v66, v86, v11, -v69
	v_mul_f16_sdwa v11, v64, v13 dst_sel:DWORD dst_unused:UNUSED_PAD src0_sel:DWORD src1_sel:WORD_1
	s_waitcnt vmcnt(5) lgkmcnt(4)
	v_mul_f16_sdwa v69, v100, v16 dst_sel:DWORD dst_unused:UNUSED_PAD src0_sel:DWORD src1_sel:WORD_1
	v_fma_f16 v71, v99, v12, -v10
	v_mul_f16_sdwa v10, v65, v16 dst_sel:DWORD dst_unused:UNUSED_PAD src0_sel:DWORD src1_sel:WORD_1
	v_fmac_f16_e32 v67, v64, v13
	v_fma_f16 v64, v90, v13, -v11
	v_fmac_f16_e32 v69, v65, v16
	v_mul_f16_sdwa v65, v93, v17 dst_sel:DWORD dst_unused:UNUSED_PAD src0_sel:DWORD src1_sel:WORD_1
	v_mul_f16_sdwa v11, v62, v17 dst_sel:DWORD dst_unused:UNUSED_PAD src0_sel:DWORD src1_sel:WORD_1
	s_waitcnt vmcnt(4) lgkmcnt(3)
	v_mul_f16_sdwa v86, v101, v14 dst_sel:DWORD dst_unused:UNUSED_PAD src0_sel:DWORD src1_sel:WORD_1
	v_fma_f16 v90, v100, v16, -v10
	v_mul_f16_sdwa v10, v63, v14 dst_sel:DWORD dst_unused:UNUSED_PAD src0_sel:DWORD src1_sel:WORD_1
	v_fmac_f16_e32 v65, v62, v17
	v_fma_f16 v62, v93, v17, -v11
	ds_read_u16 v11, v30 offset:7290
	v_fmac_f16_e32 v86, v63, v14
	v_fma_f16 v63, v101, v14, -v10
	v_mul_f16_sdwa v91, v94, v15 dst_sel:DWORD dst_unused:UNUSED_PAD src0_sel:DWORD src1_sel:WORD_1
	v_mul_f16_sdwa v10, v60, v15 dst_sel:DWORD dst_unused:UNUSED_PAD src0_sel:DWORD src1_sel:WORD_1
	s_waitcnt vmcnt(3) lgkmcnt(3)
	v_mul_f16_sdwa v92, v102, v20 dst_sel:DWORD dst_unused:UNUSED_PAD src0_sel:DWORD src1_sel:WORD_1
	v_mul_f16_sdwa v12, v61, v20 dst_sel:DWORD dst_unused:UNUSED_PAD src0_sel:DWORD src1_sel:WORD_1
	;; [unrolled: 1-line block ×3, first 2 shown]
	v_fmac_f16_e32 v91, v60, v15
	v_fma_f16 v60, v94, v15, -v10
	ds_read_u16 v10, v30 offset:7560
	v_fmac_f16_e32 v92, v61, v20
	v_fma_f16 v61, v102, v20, -v12
	v_fmac_f16_e32 v93, v59, v21
	v_mul_f16_sdwa v12, v59, v21 dst_sel:DWORD dst_unused:UNUSED_PAD src0_sel:DWORD src1_sel:WORD_1
	s_waitcnt vmcnt(2) lgkmcnt(3)
	v_mul_f16_sdwa v59, v103, v28 dst_sel:DWORD dst_unused:UNUSED_PAD src0_sel:DWORD src1_sel:WORD_1
	v_mul_f16_sdwa v13, v57, v28 dst_sel:DWORD dst_unused:UNUSED_PAD src0_sel:DWORD src1_sel:WORD_1
	ds_read_u16 v14, v30 offset:7830
	ds_read_u16 v94, v34 offset:2430
	;; [unrolled: 1-line block ×5, first 2 shown]
	v_fma_f16 v95, v95, v21, -v12
	s_waitcnt lgkmcnt(6)
	v_mul_f16_sdwa v101, v11, v29 dst_sel:DWORD dst_unused:UNUSED_PAD src0_sel:DWORD src1_sel:WORD_1
	v_fmac_f16_e32 v59, v57, v28
	v_mul_f16_sdwa v12, v58, v29 dst_sel:DWORD dst_unused:UNUSED_PAD src0_sel:DWORD src1_sel:WORD_1
	v_fma_f16 v57, v103, v28, -v13
	s_waitcnt vmcnt(1)
	v_mul_f16_sdwa v13, v56, v22 dst_sel:DWORD dst_unused:UNUSED_PAD src0_sel:DWORD src1_sel:WORD_1
	v_fmac_f16_e32 v101, v58, v29
	v_mul_f16_sdwa v58, v104, v22 dst_sel:DWORD dst_unused:UNUSED_PAD src0_sel:DWORD src1_sel:WORD_1
	v_fma_f16 v102, v11, v29, -v12
	v_mul_f16_sdwa v11, v55, v23 dst_sel:DWORD dst_unused:UNUSED_PAD src0_sel:DWORD src1_sel:WORD_1
	v_cndmask_b32_e64 v12, 0, 0x384, s0
	s_waitcnt lgkmcnt(5)
	v_mul_f16_sdwa v103, v10, v23 dst_sel:DWORD dst_unused:UNUSED_PAD src0_sel:DWORD src1_sel:WORD_1
	v_fmac_f16_e32 v58, v56, v22
	v_fma_f16 v56, v104, v22, -v13
	ds_read_u16 v104, v30
	v_fma_f16 v106, v10, v23, -v11
	v_fmac_f16_e32 v103, v55, v23
	s_waitcnt vmcnt(0)
	v_mul_f16_sdwa v55, v96, v18 dst_sel:DWORD dst_unused:UNUSED_PAD src0_sel:DWORD src1_sel:WORD_1
	v_mul_f16_sdwa v10, v54, v18 dst_sel:DWORD dst_unused:UNUSED_PAD src0_sel:DWORD src1_sel:WORD_1
	;; [unrolled: 1-line block ×3, first 2 shown]
	v_add3_u32 v4, 0, v12, v4
	v_add_f16_e32 v12, v51, v89
	v_fmac_f16_e32 v55, v54, v18
	v_fma_f16 v54, v96, v18, -v10
	v_add_f16_e32 v10, v89, v97
	s_waitcnt lgkmcnt(5)
	v_fma_f16 v96, v14, v19, -v11
	v_add_f16_e32 v11, v6, v7
	v_mul_f16_sdwa v107, v14, v19 dst_sel:DWORD dst_unused:UNUSED_PAD src0_sel:DWORD src1_sel:WORD_1
	v_add_f16_e32 v15, v72, v67
	v_fmac_f16_e32 v51, -0.5, v10
	v_sub_f16_e32 v10, v6, v7
	v_add_f16_e32 v18, v69, v65
	v_fmac_f16_e32 v107, v53, v19
	v_add_f16_e32 v19, v86, v91
	s_waitcnt lgkmcnt(0)
	v_add_f16_e32 v6, v104, v6
	v_fmac_f16_e32 v104, -0.5, v11
	v_add_f16_e32 v11, v12, v97
	v_sub_f16_e32 v12, v89, v97
	v_fmamk_f16 v13, v10, 0xbaee, v51
	v_add_f16_e32 v6, v6, v7
	v_add_f16_e32 v7, v105, v87
	v_fmac_f16_e32 v51, 0x3aee, v10
	v_fmamk_f16 v89, v12, 0x3aee, v104
	v_fmac_f16_e32 v104, 0xbaee, v12
	v_add_f16_e32 v12, v50, v105
	v_fmac_f16_e32 v50, -0.5, v7
	v_sub_f16_e32 v7, v8, v9
	v_add_f16_e32 v10, v8, v9
	v_add_f16_e32 v22, v92, v93
	;; [unrolled: 1-line block ×4, first 2 shown]
	v_fmamk_f16 v14, v7, 0xbaee, v50
	v_fmac_f16_e32 v50, 0x3aee, v7
	v_add_f16_e32 v7, v98, v68
	v_fmac_f16_e32 v108, -0.5, v10
	v_add_f16_e32 v10, v12, v87
	v_sub_f16_e32 v12, v105, v87
	v_add_f16_e32 v17, v47, v72
	v_fmac_f16_e32 v49, -0.5, v7
	v_sub_f16_e32 v7, v70, v66
	v_fmac_f16_e32 v47, -0.5, v15
	v_sub_f16_e32 v15, v71, v64
	v_add_f16_e32 v20, v48, v69
	v_fmac_f16_e32 v48, -0.5, v18
	v_sub_f16_e32 v18, v90, v62
	v_add_f16_e32 v21, v44, v86
	;; [unrolled: 3-line block ×4, first 2 shown]
	v_fmamk_f16 v9, v12, 0x3aee, v108
	v_fmac_f16_e32 v108, 0xbaee, v12
	v_fmamk_f16 v12, v7, 0xbaee, v49
	v_fmac_f16_e32 v49, 0x3aee, v7
	;; [unrolled: 2-line block ×4, first 2 shown]
	v_fmamk_f16 v18, v19, 0xbaee, v44
	v_add_f16_e32 v23, v59, v101
	v_fmac_f16_e32 v44, 0x3aee, v19
	v_add_f16_e32 v19, v58, v103
	v_fmamk_f16 v53, v22, 0xbaee, v42
	v_fmac_f16_e32 v42, 0x3aee, v22
	v_add_f16_e32 v22, v55, v107
	v_add_f16_e32 v29, v46, v59
	v_fmac_f16_e32 v46, -0.5, v23
	v_sub_f16_e32 v23, v57, v102
	v_add_f16_e32 v87, v45, v58
	v_fmac_f16_e32 v45, -0.5, v19
	v_sub_f16_e32 v19, v56, v106
	;; [unrolled: 3-line block ×3, first 2 shown]
	v_fmamk_f16 v105, v23, 0xbaee, v46
	v_fmac_f16_e32 v46, 0x3aee, v23
	v_fmamk_f16 v23, v19, 0xbaee, v45
	v_fmac_f16_e32 v45, 0x3aee, v19
	;; [unrolled: 2-line block ×3, first 2 shown]
	v_lshlrev_b32_sdwa v22, v40, v74 dst_sel:DWORD dst_unused:UNUSED_PAD src0_sel:DWORD src1_sel:WORD_0
	ds_read_u16 v109, v30 offset:540
	ds_read_u16 v110, v30 offset:810
	;; [unrolled: 1-line block ×4, first 2 shown]
	s_waitcnt lgkmcnt(0)
	s_barrier
	buffer_gl0_inv
	ds_write_b16 v30, v11
	ds_write_b16 v30, v13 offset:300
	ds_write_b16 v30, v51 offset:600
	ds_write_b16 v4, v10
	v_lshlrev_b32_sdwa v11, v40, v76 dst_sel:DWORD dst_unused:UNUSED_PAD src0_sel:DWORD src1_sel:WORD_0
	v_add3_u32 v73, 0, v73, v22
	v_add_f16_e32 v10, v16, v68
	ds_write_b16 v4, v14 offset:300
	ds_write_b16 v4, v50 offset:600
	ds_write_b16 v73, v10
	ds_write_b16 v73, v12 offset:300
	v_add3_u32 v5, 0, v5, v11
	v_add_f16_e32 v10, v17, v67
	v_lshlrev_b32_sdwa v11, v40, v78 dst_sel:DWORD dst_unused:UNUSED_PAD src0_sel:DWORD src1_sel:WORD_0
	v_mul_u32_u24_e32 v12, 0x384, v75
	v_lshlrev_b32_sdwa v13, v40, v81 dst_sel:DWORD dst_unused:UNUSED_PAD src0_sel:DWORD src1_sel:WORD_0
	v_mul_u32_u24_e32 v14, 0x384, v77
	ds_write_b16 v73, v49 offset:600
	ds_write_b16 v5, v10
	v_add3_u32 v74, 0, v12, v11
	v_add_f16_e32 v10, v20, v65
	ds_write_b16 v5, v7 offset:300
	v_add3_u32 v7, 0, v14, v13
	v_add_f16_e32 v11, v21, v91
	ds_write_b16 v5, v47 offset:600
	ds_write_b16 v74, v10
	ds_write_b16 v74, v15 offset:300
	ds_write_b16 v74, v48 offset:600
	ds_write_b16 v7, v11
	v_lshlrev_b32_sdwa v10, v40, v80 dst_sel:DWORD dst_unused:UNUSED_PAD src0_sel:DWORD src1_sel:WORD_0
	v_mul_u32_u24_e32 v11, 0x384, v52
	v_lshlrev_b32_sdwa v12, v40, v84 dst_sel:DWORD dst_unused:UNUSED_PAD src0_sel:DWORD src1_sel:WORD_0
	v_mul_u32_u24_e32 v13, 0x384, v79
	ds_write_b16 v7, v18 offset:300
	ds_write_b16 v7, v44 offset:600
	v_lshl_add_u32 v78, v83, 1, 0
	v_add3_u32 v75, 0, v11, v10
	v_add_f16_e32 v10, v28, v93
	v_add3_u32 v76, 0, v13, v12
	v_lshlrev_b32_sdwa v12, v40, v85 dst_sel:DWORD dst_unused:UNUSED_PAD src0_sel:DWORD src1_sel:WORD_0
	v_mul_u32_u24_e32 v13, 0x384, v82
	v_add_f16_e32 v11, v29, v101
	ds_write_b16 v75, v10
	ds_write_b16 v75, v53 offset:300
	ds_write_b16 v75, v42 offset:600
	ds_write_b16 v76, v11
	v_add_f16_e32 v10, v87, v103
	v_add3_u32 v77, 0, v13, v12
	v_add_f16_e32 v11, v97, v107
	ds_write_b16 v76, v105 offset:300
	ds_write_b16 v76, v46 offset:600
	ds_write_b16 v77, v10
	ds_write_b16 v77, v23 offset:300
	ds_write_b16 v77, v45 offset:600
	;; [unrolled: 1-line block ×5, first 2 shown]
	s_waitcnt lgkmcnt(0)
	s_barrier
	buffer_gl0_inv
	ds_read_u16 v17, v30
	ds_read_u16 v18, v30 offset:270
	ds_read_u16 v19, v30 offset:540
	ds_read_u16 v15, v30 offset:810
	ds_read_u16 v13, v30 offset:1080
	ds_read_u16 v10, v30 offset:1350
	ds_read_u16 v79, v30 offset:2700
	ds_read_u16 v11, v30 offset:1620
	ds_read_u16 v50, v30 offset:5940
	ds_read_u16 v48, v30 offset:6210
	ds_read_u16 v46, v30 offset:6480
	ds_read_u16 v44, v30 offset:6750
	ds_read_u16 v22, v30 offset:7020
	ds_read_u16 v53, v30 offset:2970
	ds_read_u16 v52, v30 offset:3240
	ds_read_u16 v51, v30 offset:3510
	ds_read_u16 v49, v30 offset:3780
	ds_read_u16 v47, v30 offset:4050
	ds_read_u16 v45, v30 offset:4320
	ds_read_u16 v29, v30 offset:4590
	ds_read_u16 v23, v30 offset:4860
	ds_read_u16 v42, v30 offset:7290
	ds_read_u16 v28, v30 offset:7560
	ds_read_u16 v12, v34 offset:2430
	ds_read_u16 v80, v30 offset:5670
	ds_read_u16 v81, v30 offset:5400
	ds_read_u16 v21, v30 offset:5130
	ds_read_u16 v14, v34 offset:2160
	ds_read_u16 v16, v34 offset:1890
	ds_read_u16 v20, v30 offset:7830
	s_waitcnt lgkmcnt(0)
	s_barrier
	buffer_gl0_inv
	ds_write_b16 v30, v6
	v_add_f16_e32 v6, v70, v66
	ds_write_b16 v30, v89 offset:300
	ds_write_b16 v30, v104 offset:600
	v_add_f16_e32 v43, v109, v70
	ds_write_b16 v4, v8
	ds_write_b16 v4, v9 offset:300
	v_fmac_f16_e32 v109, -0.5, v6
	v_sub_f16_e32 v6, v98, v68
	ds_write_b16 v4, v108 offset:600
	v_add_f16_e32 v4, v71, v64
	v_add_f16_e32 v8, v43, v66
	v_cmp_gt_u32_e64 s0, 45, v24
	v_fmamk_f16 v9, v6, 0x3aee, v109
	v_fmac_f16_e32 v109, 0xbaee, v6
	v_add_f16_e32 v6, v110, v71
	v_fmac_f16_e32 v110, -0.5, v4
	v_sub_f16_e32 v4, v72, v67
	ds_write_b16 v73, v8
	ds_write_b16 v73, v9 offset:300
	ds_write_b16 v73, v109 offset:600
	v_add_f16_e32 v6, v6, v64
	v_add_f16_e32 v8, v90, v62
	v_fmamk_f16 v9, v4, 0x3aee, v110
	v_fmac_f16_e32 v110, 0xbaee, v4
	v_add_f16_e32 v4, v111, v90
	ds_write_b16 v5, v6
	v_fmac_f16_e32 v111, -0.5, v8
	v_sub_f16_e32 v6, v69, v65
	ds_write_b16 v5, v9 offset:300
	v_add_f16_e32 v4, v4, v62
	ds_write_b16 v5, v110 offset:600
	v_add_f16_e32 v5, v63, v60
	v_fmamk_f16 v8, v6, 0x3aee, v111
	v_fmac_f16_e32 v111, 0xbaee, v6
	ds_write_b16 v74, v4
	v_add_f16_e32 v4, v112, v63
	v_fmac_f16_e32 v112, -0.5, v5
	v_sub_f16_e32 v5, v86, v91
	ds_write_b16 v74, v8 offset:300
	ds_write_b16 v74, v111 offset:600
	v_add_f16_e32 v6, v61, v95
	v_add_f16_e32 v4, v4, v60
	;; [unrolled: 1-line block ×3, first 2 shown]
	v_fmamk_f16 v8, v5, 0x3aee, v112
	v_fmac_f16_e32 v112, 0xbaee, v5
	v_add_f16_e32 v5, v88, v61
	ds_write_b16 v7, v4
	v_fmac_f16_e32 v88, -0.5, v6
	v_sub_f16_e32 v4, v92, v93
	v_add_f16_e32 v6, v57, v102
	v_add_f16_e32 v5, v5, v95
	ds_write_b16 v7, v8 offset:300
	ds_write_b16 v7, v112 offset:600
	v_fmamk_f16 v7, v4, 0x3aee, v88
	v_fmac_f16_e32 v88, 0xbaee, v4
	ds_write_b16 v75, v5
	v_add_f16_e32 v4, v100, v57
	v_fmac_f16_e32 v100, -0.5, v6
	v_sub_f16_e32 v5, v59, v101
	v_add_f16_e32 v6, v56, v106
	ds_write_b16 v75, v7 offset:300
	ds_write_b16 v75, v88 offset:600
	v_add_f16_e32 v8, v99, v56
	v_add_f16_e32 v4, v4, v102
	v_fmamk_f16 v7, v5, 0x3aee, v100
	v_fmac_f16_e32 v100, 0xbaee, v5
	v_add_f16_e32 v5, v54, v96
	v_fmac_f16_e32 v99, -0.5, v6
	v_sub_f16_e32 v6, v58, v103
	v_add_f16_e32 v8, v8, v106
	v_add_nc_u32_e32 v60, 0xb4, v0
	v_fmac_f16_e32 v94, -0.5, v5
	v_sub_f16_e32 v5, v55, v107
	v_fmamk_f16 v43, v6, 0x3aee, v99
	v_fmac_f16_e32 v99, 0xbaee, v6
	v_add_f16_e32 v6, v9, v96
	v_add_nc_u32_e32 v0, 0x1c2, v0
	v_fmamk_f16 v9, v5, 0x3aee, v94
	v_fmac_f16_e32 v94, 0xbaee, v5
	ds_write_b16 v76, v4
	ds_write_b16 v76, v7 offset:300
	ds_write_b16 v76, v100 offset:600
	ds_write_b16 v77, v8
	ds_write_b16 v77, v43 offset:300
	ds_write_b16 v77, v99 offset:600
	;; [unrolled: 1-line block ×5, first 2 shown]
	v_subrev_nc_u32_e32 v8, 45, v24
	v_lshlrev_b32_e32 v4, 1, v33
	v_mov_b32_e32 v5, v1
	v_lshlrev_b32_e32 v6, 1, v35
	v_mov_b32_e32 v9, v1
	v_cndmask_b32_e64 v8, v8, v25, s0
	v_mov_b32_e32 v35, 0x91a3
	s_waitcnt lgkmcnt(0)
	s_barrier
	buffer_gl0_inv
	v_lshlrev_b32_e32 v8, 1, v8
	global_load_dwordx2 v[54:55], v[2:3], off offset:1760
	v_mov_b32_e32 v7, v1
	v_lshlrev_b64 v[4:5], 2, v[4:5]
	v_mul_u32_u24_sdwa v33, v36, v35 dst_sel:DWORD dst_unused:UNUSED_PAD src0_sel:WORD_0 src1_sel:DWORD
	v_lshlrev_b64 v[58:59], 2, v[8:9]
	v_mul_u32_u24_sdwa v9, v38, v35 dst_sel:DWORD dst_unused:UNUSED_PAD src0_sel:WORD_0 src1_sel:DWORD
	v_lshlrev_b64 v[56:57], 2, v[6:7]
	v_mov_b32_e32 v61, v1
	v_add_co_u32 v6, s0, s8, v4
	v_lshrrev_b32_e32 v9, 24, v9
	v_add_co_ci_u32_e64 v7, s0, s9, v5, s0
	v_add_co_u32 v4, s0, s8, v56
	v_lshlrev_b64 v[62:63], 2, v[0:1]
	v_lshrrev_b32_e32 v0, 24, v33
	v_mul_lo_u16 v33, 0x1c2, v9
	v_add_co_ci_u32_e64 v5, s0, s9, v57, s0
	global_load_dwordx2 v[56:57], v[6:7], off offset:1760
	v_add_co_u32 v58, s0, s8, v58
	v_lshlrev_b64 v[60:61], 2, v[60:61]
	v_add_co_ci_u32_e64 v59, s0, s9, v59, s0
	v_sub_nc_u16 v43, v38, v33
	s_clause 0x1
	global_load_dwordx2 v[64:65], v[4:5], off offset:1760
	global_load_dwordx2 v[58:59], v[58:59], off offset:1760
	v_add_co_u32 v60, s0, s8, v60
	v_add_co_ci_u32_e64 v61, s0, s9, v61, s0
	v_lshlrev_b32_sdwa v41, v41, v43 dst_sel:DWORD dst_unused:UNUSED_PAD src0_sel:DWORD src1_sel:WORD_0
	v_mul_lo_u16 v0, 0x1c2, v0
	v_mul_u32_u24_sdwa v33, v39, v35 dst_sel:DWORD dst_unused:UNUSED_PAD src0_sel:WORD_0 src1_sel:DWORD
	global_load_dwordx2 v[66:67], v[60:61], off offset:1760
	v_mul_u32_u24_e32 v9, 0xa8c, v9
	global_load_dwordx2 v[70:71], v41, s[8:9] offset:1760
	v_add_co_u32 v60, s0, s8, v62
	v_add_co_ci_u32_e64 v61, s0, s9, v63, s0
	v_sub_nc_u16 v0, v36, v0
	v_cmp_lt_u32_e64 s0, 44, v24
	global_load_dwordx2 v[68:69], v[60:61], off offset:1760
	v_lshrrev_b32_e32 v60, 24, v33
	v_and_b32_e32 v33, 0xffff, v0
	v_mul_u32_u24_sdwa v0, v37, v35 dst_sel:DWORD dst_unused:UNUSED_PAD src0_sel:WORD_0 src1_sel:DWORD
	v_mul_lo_u16 v35, 0x1c2, v60
	v_lshlrev_b32_e32 v41, 3, v33
	v_lshrrev_b32_e32 v0, 24, v0
	v_sub_nc_u16 v35, v39, v35
	global_load_dwordx2 v[72:73], v41, s[8:9] offset:1760
	v_mul_lo_u16 v0, 0x1c2, v0
	v_and_b32_e32 v41, 0xffff, v35
	v_sub_nc_u16 v0, v37, v0
	v_lshlrev_b32_e32 v60, 3, v41
	v_and_b32_e32 v35, 0xffff, v0
	global_load_dwordx2 v[74:75], v60, s[8:9] offset:1760
	v_lshlrev_b32_e32 v0, 3, v35
	global_load_dwordx2 v[76:77], v0, s[8:9] offset:1760
	ds_read_u16 v61, v30 offset:2700
	ds_read_u16 v62, v30 offset:5400
	;; [unrolled: 1-line block ×12, first 2 shown]
	s_waitcnt vmcnt(9) lgkmcnt(11)
	v_mul_f16_sdwa v60, v61, v54 dst_sel:DWORD dst_unused:UNUSED_PAD src0_sel:DWORD src1_sel:WORD_1
	v_mul_f16_sdwa v63, v79, v54 dst_sel:DWORD dst_unused:UNUSED_PAD src0_sel:DWORD src1_sel:WORD_1
	s_waitcnt lgkmcnt(10)
	v_mul_f16_sdwa v89, v62, v55 dst_sel:DWORD dst_unused:UNUSED_PAD src0_sel:DWORD src1_sel:WORD_1
	v_fmac_f16_e32 v60, v79, v54
	v_fma_f16 v79, v61, v54, -v63
	ds_read_u16 v61, v30 offset:3510
	v_mul_f16_sdwa v54, v81, v55 dst_sel:DWORD dst_unused:UNUSED_PAD src0_sel:DWORD src1_sel:WORD_1
	v_fmac_f16_e32 v89, v81, v55
	ds_read_u16 v81, v30 offset:3780
	ds_read_u16 v91, v30 offset:4050
	;; [unrolled: 1-line block ×5, first 2 shown]
	v_fma_f16 v98, v62, v55, -v54
	s_waitcnt vmcnt(8) lgkmcnt(13)
	v_mul_f16_sdwa v96, v82, v57 dst_sel:DWORD dst_unused:UNUSED_PAD src0_sel:DWORD src1_sel:WORD_1
	v_mul_f16_sdwa v97, v80, v57 dst_sel:DWORD dst_unused:UNUSED_PAD src0_sel:DWORD src1_sel:WORD_1
	;; [unrolled: 1-line block ×4, first 2 shown]
	v_fmac_f16_e32 v96, v80, v57
	v_fma_f16 v80, v82, v57, -v97
	s_waitcnt vmcnt(7) lgkmcnt(12)
	v_mul_f16_sdwa v97, v83, v65 dst_sel:DWORD dst_unused:UNUSED_PAD src0_sel:DWORD src1_sel:WORD_1
	v_fmac_f16_e32 v95, v53, v56
	v_fma_f16 v78, v78, v56, -v63
	s_waitcnt lgkmcnt(6)
	v_mul_f16_sdwa v82, v90, v64 dst_sel:DWORD dst_unused:UNUSED_PAD src0_sel:DWORD src1_sel:WORD_1
	v_mul_f16_sdwa v53, v52, v64 dst_sel:DWORD dst_unused:UNUSED_PAD src0_sel:DWORD src1_sel:WORD_1
	;; [unrolled: 1-line block ×3, first 2 shown]
	s_waitcnt vmcnt(6) lgkmcnt(5)
	v_mul_f16_sdwa v63, v61, v58 dst_sel:DWORD dst_unused:UNUSED_PAD src0_sel:DWORD src1_sel:WORD_1
	v_fmac_f16_e32 v97, v50, v65
	v_mul_f16_sdwa v50, v51, v58 dst_sel:DWORD dst_unused:UNUSED_PAD src0_sel:DWORD src1_sel:WORD_1
	v_fmac_f16_e32 v82, v52, v64
	v_fma_f16 v52, v90, v64, -v53
	v_fma_f16 v64, v83, v65, -v54
	v_fmac_f16_e32 v63, v51, v58
	s_waitcnt vmcnt(5) lgkmcnt(4)
	v_mul_f16_sdwa v53, v81, v66 dst_sel:DWORD dst_unused:UNUSED_PAD src0_sel:DWORD src1_sel:WORD_1
	v_fma_f16 v83, v61, v58, -v50
	v_mul_f16_sdwa v58, v85, v67 dst_sel:DWORD dst_unused:UNUSED_PAD src0_sel:DWORD src1_sel:WORD_1
	v_mul_f16_sdwa v65, v84, v59 dst_sel:DWORD dst_unused:UNUSED_PAD src0_sel:DWORD src1_sel:WORD_1
	;; [unrolled: 1-line block ×4, first 2 shown]
	v_fmac_f16_e32 v53, v49, v66
	v_mul_f16_sdwa v49, v46, v67 dst_sel:DWORD dst_unused:UNUSED_PAD src0_sel:DWORD src1_sel:WORD_1
	v_fmac_f16_e32 v58, v46, v67
	ds_read_u16 v46, v30 offset:7290
	v_fmac_f16_e32 v65, v48, v59
	v_fma_f16 v48, v84, v59, -v51
	v_fma_f16 v59, v81, v66, -v54
	ds_read_u16 v66, v30 offset:7560
	s_waitcnt vmcnt(3)
	v_mul_f16_sdwa v54, v47, v68 dst_sel:DWORD dst_unused:UNUSED_PAD src0_sel:DWORD src1_sel:WORD_1
	v_mul_f16_sdwa v51, v86, v69 dst_sel:DWORD dst_unused:UNUSED_PAD src0_sel:DWORD src1_sel:WORD_1
	s_waitcnt lgkmcnt(5)
	v_mul_f16_sdwa v50, v91, v68 dst_sel:DWORD dst_unused:UNUSED_PAD src0_sel:DWORD src1_sel:WORD_1
	v_mul_f16_sdwa v56, v87, v71 dst_sel:DWORD dst_unused:UNUSED_PAD src0_sel:DWORD src1_sel:WORD_1
	v_fma_f16 v61, v85, v67, -v49
	v_fma_f16 v55, v91, v68, -v54
	v_fmac_f16_e32 v51, v44, v69
	v_mul_f16_sdwa v44, v44, v69 dst_sel:DWORD dst_unused:UNUSED_PAD src0_sel:DWORD src1_sel:WORD_1
	s_waitcnt lgkmcnt(4)
	v_mul_f16_sdwa v54, v92, v70 dst_sel:DWORD dst_unused:UNUSED_PAD src0_sel:DWORD src1_sel:WORD_1
	v_fmac_f16_e32 v50, v47, v68
	v_mul_f16_sdwa v47, v45, v70 dst_sel:DWORD dst_unused:UNUSED_PAD src0_sel:DWORD src1_sel:WORD_1
	v_mul_f16_sdwa v67, v22, v71 dst_sel:DWORD dst_unused:UNUSED_PAD src0_sel:DWORD src1_sel:WORD_1
	v_fma_f16 v57, v86, v69, -v44
	v_fmac_f16_e32 v54, v45, v70
	ds_read_u16 v68, v30 offset:7830
	ds_read_u16 v44, v34 offset:2430
	;; [unrolled: 1-line block ×4, first 2 shown]
	v_fma_f16 v62, v92, v70, -v47
	s_waitcnt vmcnt(2) lgkmcnt(5)
	v_mul_f16_sdwa v70, v46, v73 dst_sel:DWORD dst_unused:UNUSED_PAD src0_sel:DWORD src1_sel:WORD_1
	v_fmac_f16_e32 v56, v22, v71
	v_mul_f16_sdwa v22, v42, v73 dst_sel:DWORD dst_unused:UNUSED_PAD src0_sel:DWORD src1_sel:WORD_1
	s_waitcnt vmcnt(1) lgkmcnt(4)
	v_mul_f16_sdwa v81, v66, v75 dst_sel:DWORD dst_unused:UNUSED_PAD src0_sel:DWORD src1_sel:WORD_1
	v_mul_f16_sdwa v49, v93, v72 dst_sel:DWORD dst_unused:UNUSED_PAD src0_sel:DWORD src1_sel:WORD_1
	v_fmac_f16_e32 v70, v42, v73
	v_mul_f16_sdwa v42, v28, v75 dst_sel:DWORD dst_unused:UNUSED_PAD src0_sel:DWORD src1_sel:WORD_1
	v_mul_f16_sdwa v47, v29, v72 dst_sel:DWORD dst_unused:UNUSED_PAD src0_sel:DWORD src1_sel:WORD_1
	v_fmac_f16_e32 v81, v28, v75
	s_waitcnt vmcnt(0)
	v_mul_f16_sdwa v84, v88, v76 dst_sel:DWORD dst_unused:UNUSED_PAD src0_sel:DWORD src1_sel:WORD_1
	v_fma_f16 v73, v46, v73, -v22
	v_fma_f16 v66, v66, v75, -v42
	ds_read_u16 v75, v30
	v_mul_f16_sdwa v22, v21, v76 dst_sel:DWORD dst_unused:UNUSED_PAD src0_sel:DWORD src1_sel:WORD_1
	v_fma_f16 v67, v87, v71, -v67
	s_waitcnt lgkmcnt(4)
	v_mul_f16_sdwa v85, v68, v77 dst_sel:DWORD dst_unused:UNUSED_PAD src0_sel:DWORD src1_sel:WORD_1
	v_fmac_f16_e32 v49, v29, v72
	v_fma_f16 v71, v93, v72, -v47
	v_mul_f16_sdwa v72, v94, v74 dst_sel:DWORD dst_unused:UNUSED_PAD src0_sel:DWORD src1_sel:WORD_1
	v_fmac_f16_e32 v84, v21, v76
	v_mul_f16_sdwa v21, v20, v77 dst_sel:DWORD dst_unused:UNUSED_PAD src0_sel:DWORD src1_sel:WORD_1
	v_fmac_f16_e32 v85, v20, v77
	v_add_f16_e32 v20, v60, v89
	v_fma_f16 v76, v88, v76, -v22
	ds_read_u16 v86, v30 offset:270
	ds_read_u16 v87, v30 offset:540
	;; [unrolled: 1-line block ×5, first 2 shown]
	v_mul_f16_sdwa v29, v23, v74 dst_sel:DWORD dst_unused:UNUSED_PAD src0_sel:DWORD src1_sel:WORD_1
	v_fmac_f16_e32 v72, v23, v74
	v_cndmask_b32_e64 v23, 0, 0xa8c, s0
	v_fma_f16 v68, v68, v77, -v21
	v_add_f16_e32 v21, v17, v60
	v_fmac_f16_e32 v17, -0.5, v20
	v_add_f16_e32 v20, v79, v98
	v_sub_f16_e32 v22, v79, v98
	v_add3_u32 v77, 0, v23, v8
	s_waitcnt lgkmcnt(5)
	v_add_f16_e32 v23, v75, v79
	v_fma_f16 v74, v94, v74, -v29
	v_fmac_f16_e32 v75, -0.5, v20
	v_add_f16_e32 v20, v21, v89
	v_sub_f16_e32 v21, v60, v89
	v_fmamk_f16 v28, v22, 0xbaee, v17
	v_fmac_f16_e32 v17, 0x3aee, v22
	v_add_f16_e32 v22, v95, v96
	v_add_f16_e32 v79, v23, v98
	v_fmamk_f16 v89, v21, 0x3aee, v75
	v_fmac_f16_e32 v75, 0xbaee, v21
	v_add_f16_e32 v21, v78, v80
	v_add_f16_e32 v23, v18, v95
	v_fmac_f16_e32 v18, -0.5, v22
	v_sub_f16_e32 v22, v78, v80
	v_lshlrev_b32_sdwa v8, v40, v43 dst_sel:DWORD dst_unused:UNUSED_PAD src0_sel:DWORD src1_sel:WORD_0
	s_waitcnt lgkmcnt(4)
	v_add_f16_e32 v29, v86, v78
	v_fmac_f16_e32 v86, -0.5, v21
	v_add_f16_e32 v21, v23, v96
	v_sub_f16_e32 v23, v95, v96
	v_fmamk_f16 v40, v22, 0xbaee, v18
	v_fmac_f16_e32 v18, 0x3aee, v22
	v_add_f16_e32 v22, v82, v97
	v_add_f16_e32 v78, v29, v80
	v_fmamk_f16 v80, v23, 0x3aee, v86
	v_fmac_f16_e32 v86, 0xbaee, v23
	v_add_f16_e32 v23, v52, v64
	v_add_f16_e32 v29, v19, v82
	v_fmac_f16_e32 v19, -0.5, v22
	v_sub_f16_e32 v22, v52, v64
	s_waitcnt lgkmcnt(3)
	v_add_f16_e32 v42, v87, v52
	v_fmac_f16_e32 v87, -0.5, v23
	v_add_f16_e32 v23, v29, v97
	v_sub_f16_e32 v29, v82, v97
	v_fmamk_f16 v43, v22, 0xbaee, v19
	v_fmac_f16_e32 v19, 0x3aee, v22
	v_add_f16_e32 v22, v63, v65
	v_add_f16_e32 v64, v42, v64
	v_fmamk_f16 v82, v29, 0x3aee, v87
	v_fmac_f16_e32 v87, 0xbaee, v29
	v_add_f16_e32 v29, v83, v48
	v_add_f16_e32 v42, v15, v63
	v_fmac_f16_e32 v15, -0.5, v22
	s_waitcnt lgkmcnt(2)
	v_add_f16_e32 v22, v88, v83
	v_sub_f16_e32 v46, v83, v48
	v_fmac_f16_e32 v88, -0.5, v29
	v_add_f16_e32 v29, v42, v65
	v_add_f16_e32 v42, v53, v58
	v_sub_f16_e32 v47, v63, v65
	v_add_f16_e32 v65, v22, v48
	v_add_f16_e32 v22, v50, v51
	v_fmamk_f16 v52, v46, 0xbaee, v15
	v_fmac_f16_e32 v15, 0x3aee, v46
	v_add_f16_e32 v46, v13, v53
	v_fmac_f16_e32 v13, -0.5, v42
	v_sub_f16_e32 v42, v59, v61
	v_add_f16_e32 v48, v54, v56
	v_add_f16_e32 v60, v10, v50
	v_fmac_f16_e32 v10, -0.5, v22
	v_sub_f16_e32 v22, v55, v57
	v_fmamk_f16 v83, v47, 0x3aee, v88
	v_fmac_f16_e32 v88, 0xbaee, v47
	v_fmamk_f16 v47, v42, 0xbaee, v13
	v_add_f16_e32 v63, v11, v54
	v_fmac_f16_e32 v11, -0.5, v48
	v_sub_f16_e32 v48, v62, v67
	v_fmac_f16_e32 v13, 0x3aee, v42
	v_fmamk_f16 v42, v22, 0xbaee, v10
	v_fmac_f16_e32 v10, 0x3aee, v22
	v_add_f16_e32 v22, v49, v70
	v_add_f16_e32 v93, v72, v81
	;; [unrolled: 1-line block ×3, first 2 shown]
	v_fmamk_f16 v92, v48, 0xbaee, v11
	v_fmac_f16_e32 v11, 0x3aee, v48
	v_add_f16_e32 v48, v16, v49
	v_fmac_f16_e32 v16, -0.5, v22
	v_sub_f16_e32 v22, v71, v73
	v_add_f16_e32 v95, v14, v72
	v_fmac_f16_e32 v14, -0.5, v93
	v_sub_f16_e32 v93, v74, v66
	;; [unrolled: 3-line block ×3, first 2 shown]
	s_waitcnt lgkmcnt(0)
	s_barrier
	buffer_gl0_inv
	ds_write_b16 v30, v20
	ds_write_b16 v30, v28 offset:900
	ds_write_b16 v30, v17 offset:1800
	;; [unrolled: 1-line block ×8, first 2 shown]
	ds_write_b16 v77, v29
	v_add_f16_e32 v17, v46, v58
	v_fmamk_f16 v97, v22, 0xbaee, v16
	v_fmac_f16_e32 v16, 0x3aee, v22
	v_fmamk_f16 v22, v93, 0xbaee, v14
	v_fmac_f16_e32 v14, 0x3aee, v93
	;; [unrolled: 2-line block ×3, first 2 shown]
	v_add3_u32 v94, 0, v9, v8
	v_add_f16_e32 v8, v63, v56
	ds_write_b16 v77, v52 offset:900
	ds_write_b16 v77, v15 offset:1800
	v_add_f16_e32 v15, v60, v51
	v_add_f16_e32 v9, v48, v70
	v_lshl_add_u32 v98, v33, 1, 0
	ds_write_b16 v34, v17 offset:2880
	ds_write_b16 v34, v47 offset:3780
	ds_write_b16 v34, v13 offset:4680
	ds_write_b16 v34, v15 offset:3150
	ds_write_b16 v34, v42 offset:4050
	ds_write_b16 v34, v10 offset:4950
	ds_write_b16 v94, v8
	ds_write_b16 v94, v92 offset:900
	ds_write_b16 v94, v11 offset:1800
	;; [unrolled: 1-line block ×3, first 2 shown]
	v_add_f16_e32 v8, v95, v81
	v_lshl_add_u32 v92, v41, 1, 0
	v_add_f16_e32 v9, v96, v85
	v_lshl_add_u32 v95, v35, 1, 0
	ds_write_b16 v98, v97 offset:6300
	ds_write_b16 v98, v16 offset:7200
	;; [unrolled: 1-line block ×8, first 2 shown]
	s_waitcnt lgkmcnt(0)
	s_barrier
	buffer_gl0_inv
	ds_read_u16 v41, v30
	ds_read_u16 v43, v30 offset:270
	ds_read_u16 v8, v30 offset:540
	;; [unrolled: 1-line block ×29, first 2 shown]
	s_waitcnt lgkmcnt(0)
	s_barrier
	buffer_gl0_inv
	ds_write_b16 v30, v79
	ds_write_b16 v30, v89 offset:900
	ds_write_b16 v30, v75 offset:1800
	;; [unrolled: 1-line block ×6, first 2 shown]
	v_add_f16_e32 v64, v59, v61
	v_add_f16_e32 v59, v90, v59
	v_sub_f16_e32 v53, v53, v58
	v_sub_f16_e32 v50, v50, v51
	v_add_f16_e32 v51, v0, v62
	v_fmac_f16_e32 v90, -0.5, v64
	v_add_f16_e32 v58, v59, v61
	v_add_f16_e32 v59, v55, v57
	;; [unrolled: 1-line block ×3, first 2 shown]
	ds_write_b16 v30, v82 offset:1440
	ds_write_b16 v30, v87 offset:2340
	ds_write_b16 v77, v65
	v_fmamk_f16 v61, v53, 0x3aee, v90
	v_fmac_f16_e32 v90, 0xbaee, v53
	v_add_f16_e32 v53, v62, v67
	v_fmac_f16_e32 v91, -0.5, v59
	ds_write_b16 v77, v83 offset:900
	ds_write_b16 v77, v88 offset:1800
	v_sub_f16_e32 v49, v49, v70
	v_fmac_f16_e32 v0, -0.5, v53
	v_sub_f16_e32 v53, v54, v56
	v_add_f16_e32 v54, v55, v57
	v_fmamk_f16 v55, v50, 0x3aee, v91
	v_fmac_f16_e32 v91, 0xbaee, v50
	v_add_f16_e32 v50, v51, v67
	v_fmamk_f16 v51, v53, 0x3aee, v0
	v_fmac_f16_e32 v0, 0xbaee, v53
	v_add_f16_e32 v53, v71, v73
	ds_write_b16 v34, v58 offset:2880
	ds_write_b16 v34, v61 offset:3780
	ds_write_b16 v34, v90 offset:4680
	ds_write_b16 v34, v54 offset:3150
	ds_write_b16 v34, v55 offset:4050
	ds_write_b16 v34, v91 offset:4950
	ds_write_b16 v94, v50
	v_add_f16_e32 v50, v69, v71
	ds_write_b16 v94, v51 offset:900
	ds_write_b16 v94, v0 offset:1800
	v_fmac_f16_e32 v69, -0.5, v53
	v_add_f16_e32 v53, v45, v74
	v_add_f16_e32 v54, v44, v76
	;; [unrolled: 1-line block ×4, first 2 shown]
	v_fmamk_f16 v51, v49, 0x3aee, v69
	v_fmac_f16_e32 v69, 0xbaee, v49
	v_add_f16_e32 v49, v76, v68
	v_add_f16_e32 v53, v53, v66
	v_fmac_f16_e32 v45, -0.5, v50
	v_sub_f16_e32 v50, v72, v81
	v_fmac_f16_e32 v44, -0.5, v49
	v_sub_f16_e32 v49, v84, v85
	v_fmamk_f16 v55, v50, 0x3aee, v45
	v_fmac_f16_e32 v45, 0xbaee, v50
	v_add_f16_e32 v50, v54, v68
	v_fmamk_f16 v54, v49, 0x3aee, v44
	v_fmac_f16_e32 v44, 0xbaee, v49
	ds_write_b16 v98, v0 offset:5400
	ds_write_b16 v98, v51 offset:6300
	;; [unrolled: 1-line block ×9, first 2 shown]
	s_waitcnt lgkmcnt(0)
	s_barrier
	buffer_gl0_inv
	s_and_saveexec_b32 s0, vcc_lo
	s_cbranch_execz .LBB0_13
; %bb.12:
	v_lshlrev_b32_e32 v0, 1, v37
	v_add_co_u32 v6, vcc_lo, 0x1000, v6
	v_add_co_ci_u32_e32 v7, vcc_lo, 0, v7, vcc_lo
	v_lshlrev_b64 v[44:45], 2, v[0:1]
	v_add_co_u32 v2, vcc_lo, 0x1000, v2
	v_lshlrev_b32_e32 v0, 1, v39
	v_add_co_ci_u32_e32 v3, vcc_lo, 0, v3, vcc_lo
	v_add_co_u32 v44, vcc_lo, s8, v44
	v_add_co_ci_u32_e32 v45, vcc_lo, s9, v45, vcc_lo
	v_lshlrev_b64 v[49:50], 2, v[0:1]
	v_add_co_u32 v44, vcc_lo, 0x1000, v44
	v_add_co_ci_u32_e32 v45, vcc_lo, 0, v45, vcc_lo
	s_clause 0x1
	global_load_dwordx2 v[6:7], v[6:7], off offset:1264
	global_load_dwordx2 v[2:3], v[2:3], off offset:1264
	v_add_co_u32 v0, vcc_lo, s8, v49
	v_add_co_ci_u32_e32 v50, vcc_lo, s9, v50, vcc_lo
	global_load_dwordx2 v[44:45], v[44:45], off offset:1264
	v_add_co_u32 v49, vcc_lo, 0x1000, v0
	v_lshlrev_b32_e32 v0, 1, v36
	v_add_co_ci_u32_e32 v50, vcc_lo, 0, v50, vcc_lo
	v_lshlrev_b64 v[53:54], 2, v[0:1]
	global_load_dwordx2 v[49:50], v[49:50], off offset:1264
	v_add_co_u32 v0, vcc_lo, s8, v53
	v_add_co_ci_u32_e32 v51, vcc_lo, s9, v54, vcc_lo
	v_add_co_u32 v53, vcc_lo, 0x1000, v0
	v_lshlrev_b32_e32 v0, 1, v38
	v_add_co_ci_u32_e32 v54, vcc_lo, 0, v51, vcc_lo
	v_lshlrev_b64 v[55:56], 2, v[0:1]
	global_load_dwordx2 v[53:54], v[53:54], off offset:1264
	v_add_co_u32 v0, vcc_lo, s8, v55
	v_add_co_ci_u32_e32 v51, vcc_lo, s9, v56, vcc_lo
	;; [unrolled: 7-line block ×3, first 2 shown]
	v_add_co_u32 v57, vcc_lo, 0x1000, v0
	v_add_co_ci_u32_e32 v58, vcc_lo, 0, v32, vcc_lo
	v_lshlrev_b32_e32 v0, 1, v31
	global_load_dwordx2 v[31:32], v[57:58], off offset:1264
	v_lshlrev_b64 v[57:58], 2, v[0:1]
	v_add_co_u32 v0, vcc_lo, s8, v57
	v_add_co_ci_u32_e32 v51, vcc_lo, s9, v58, vcc_lo
	v_add_co_u32 v57, vcc_lo, 0x1000, v0
	v_lshlrev_b32_e32 v0, 1, v25
	v_add_co_ci_u32_e32 v58, vcc_lo, 0, v51, vcc_lo
	v_lshlrev_b64 v[61:62], 2, v[0:1]
	global_load_dwordx2 v[57:58], v[57:58], off offset:1264
	v_add_co_u32 v0, vcc_lo, s8, v61
	v_add_co_ci_u32_e32 v25, vcc_lo, s9, v62, vcc_lo
	v_add_co_u32 v61, vcc_lo, 0x1000, v0
	v_add_co_ci_u32_e32 v62, vcc_lo, 0, v25, vcc_lo
	;; [unrolled: 2-line block ×3, first 2 shown]
	s_clause 0x1
	global_load_dwordx2 v[61:62], v[61:62], off offset:1264
	global_load_dwordx2 v[4:5], v[4:5], off offset:1264
	ds_read_u16 v0, v30 offset:5130
	ds_read_u16 v51, v34 offset:2430
	;; [unrolled: 1-line block ×22, first 2 shown]
	ds_read_u16 v90, v30
	ds_read_u16 v93, v30 offset:7020
	ds_read_u16 v94, v30 offset:6750
	;; [unrolled: 1-line block ×7, first 2 shown]
	v_mov_b32_e32 v25, v1
	v_add_co_u32 v91, vcc_lo, s2, v26
	v_add_co_ci_u32_e32 v92, vcc_lo, s3, v27, vcc_lo
	v_lshlrev_b64 v[24:25], 2, v[24:25]
	v_mul_hi_u32 v26, 0xc22e4507, v38
	v_add_co_u32 v24, vcc_lo, v91, v24
	v_add_co_ci_u32_e32 v25, vcc_lo, v92, v25, vcc_lo
	v_lshrrev_b32_e32 v99, 10, v26
	v_add_co_u32 v26, vcc_lo, 0x1000, v24
	v_add_co_ci_u32_e32 v27, vcc_lo, 0, v25, vcc_lo
	v_add_co_u32 v64, vcc_lo, 0x2800, v24
	v_add_co_ci_u32_e32 v65, vcc_lo, 0, v25, vcc_lo
	v_add_co_u32 v66, vcc_lo, 0x1800, v24
	v_add_co_ci_u32_e32 v67, vcc_lo, 0, v25, vcc_lo
	v_add_co_u32 v68, vcc_lo, 0x3000, v24
	v_add_co_ci_u32_e32 v69, vcc_lo, 0, v25, vcc_lo
	v_add_co_u32 v70, vcc_lo, 0x800, v24
	v_add_co_ci_u32_e32 v71, vcc_lo, 0, v25, vcc_lo
	s_waitcnt vmcnt(9)
	v_mul_f16_sdwa v100, v52, v6 dst_sel:DWORD dst_unused:UNUSED_PAD src0_sel:DWORD src1_sel:WORD_1
	v_mul_f16_sdwa v101, v63, v7 dst_sel:DWORD dst_unused:UNUSED_PAD src0_sel:DWORD src1_sel:WORD_1
	s_waitcnt lgkmcnt(15)
	v_mul_f16_sdwa v102, v82, v6 dst_sel:DWORD dst_unused:UNUSED_PAD src0_sel:DWORD src1_sel:WORD_1
	s_waitcnt lgkmcnt(1)
	v_mul_f16_sdwa v103, v98, v7 dst_sel:DWORD dst_unused:UNUSED_PAD src0_sel:DWORD src1_sel:WORD_1
	s_waitcnt vmcnt(8)
	v_mul_f16_sdwa v104, v48, v2 dst_sel:DWORD dst_unused:UNUSED_PAD src0_sel:DWORD src1_sel:WORD_1
	v_mul_f16_sdwa v105, v60, v3 dst_sel:DWORD dst_unused:UNUSED_PAD src0_sel:DWORD src1_sel:WORD_1
	v_mul_f16_sdwa v106, v83, v2 dst_sel:DWORD dst_unused:UNUSED_PAD src0_sel:DWORD src1_sel:WORD_1
	s_waitcnt lgkmcnt(0)
	v_mul_f16_sdwa v107, v30, v3 dst_sel:DWORD dst_unused:UNUSED_PAD src0_sel:DWORD src1_sel:WORD_1
	v_fma_f16 v82, v6, v82, -v100
	v_fma_f16 v98, v7, v98, -v101
	v_fmac_f16_e32 v102, v52, v6
	v_fmac_f16_e32 v103, v63, v7
	v_fma_f16 v6, v2, v83, -v104
	v_fma_f16 v7, v3, v30, -v105
	v_fmac_f16_e32 v106, v48, v2
	v_fmac_f16_e32 v107, v60, v3
	v_add_f16_e32 v2, v82, v98
	v_add_f16_e32 v30, v89, v82
	v_add_f16_e32 v48, v102, v103
	v_add_f16_e32 v60, v43, v102
	v_add_f16_e32 v63, v6, v7
	v_add_f16_e32 v83, v90, v6
	v_add_f16_e32 v100, v106, v107
	v_add_f16_e32 v101, v41, v106
	v_sub_f16_e32 v3, v102, v103
	v_sub_f16_e32 v52, v82, v98
	;; [unrolled: 1-line block ×4, first 2 shown]
	v_fma_f16 v2, -0.5, v2, v89
	v_add_f16_e32 v30, v30, v98
	v_fma_f16 v43, -0.5, v48, v43
	v_add_f16_e32 v48, v60, v103
	;; [unrolled: 2-line block ×4, first 2 shown]
	s_waitcnt vmcnt(7)
	v_mul_f16_sdwa v83, v46, v44 dst_sel:DWORD dst_unused:UNUSED_PAD src0_sel:DWORD src1_sel:WORD_1
	v_mul_f16_sdwa v89, v47, v45 dst_sel:DWORD dst_unused:UNUSED_PAD src0_sel:DWORD src1_sel:WORD_1
	;; [unrolled: 1-line block ×4, first 2 shown]
	v_fmamk_f16 v100, v3, 0xbaee, v2
	v_fmac_f16_e32 v2, 0x3aee, v3
	v_fmamk_f16 v3, v52, 0x3aee, v43
	v_fmac_f16_e32 v43, 0xbaee, v52
	;; [unrolled: 2-line block ×4, first 2 shown]
	v_pack_b32_f16 v6, v63, v7
	v_pack_b32_f16 v7, v48, v30
	v_fma_f16 v0, v44, v0, -v83
	v_fma_f16 v30, v45, v72, -v89
	v_fmac_f16_e32 v90, v46, v44
	v_fmac_f16_e32 v98, v47, v45
	s_waitcnt vmcnt(6)
	v_mul_f16_sdwa v44, v40, v49 dst_sel:DWORD dst_unused:UNUSED_PAD src0_sel:DWORD src1_sel:WORD_1
	v_mul_f16_sdwa v45, v42, v50 dst_sel:DWORD dst_unused:UNUSED_PAD src0_sel:DWORD src1_sel:WORD_1
	v_mul_f16_sdwa v46, v75, v49 dst_sel:DWORD dst_unused:UNUSED_PAD src0_sel:DWORD src1_sel:WORD_1
	v_mul_f16_sdwa v47, v73, v50 dst_sel:DWORD dst_unused:UNUSED_PAD src0_sel:DWORD src1_sel:WORD_1
	global_store_dword v[24:25], v6, off
	v_pack_b32_f16 v6, v41, v60
	v_pack_b32_f16 v41, v82, v52
	global_store_dword v[24:25], v7, off offset:540
	v_add_f16_e32 v7, v0, v30
	v_add_f16_e32 v48, v51, v0
	;; [unrolled: 1-line block ×3, first 2 shown]
	v_fma_f16 v44, v49, v75, -v44
	v_fma_f16 v45, v50, v73, -v45
	v_fmac_f16_e32 v46, v40, v49
	v_fmac_f16_e32 v47, v42, v50
	s_waitcnt vmcnt(5)
	v_mul_f16_sdwa v40, v29, v53 dst_sel:DWORD dst_unused:UNUSED_PAD src0_sel:DWORD src1_sel:WORD_1
	v_mul_f16_sdwa v42, v33, v54 dst_sel:DWORD dst_unused:UNUSED_PAD src0_sel:DWORD src1_sel:WORD_1
	;; [unrolled: 1-line block ×4, first 2 shown]
	v_pack_b32_f16 v2, v43, v2
	v_pack_b32_f16 v3, v3, v100
	v_sub_f16_e32 v43, v90, v98
	v_sub_f16_e32 v0, v0, v30
	global_store_dword v[26:27], v6, off offset:1304
	global_store_dword v[64:65], v41, off offset:560
	;; [unrolled: 1-line block ×4, first 2 shown]
	v_fma_f16 v26, -0.5, v7, v51
	v_add_f16_e32 v27, v48, v30
	v_fma_f16 v30, -0.5, v52, v35
	v_add_f16_e32 v2, v44, v45
	v_sub_f16_e32 v3, v46, v47
	v_add_f16_e32 v6, v59, v44
	v_add_f16_e32 v7, v46, v47
	v_sub_f16_e32 v41, v44, v45
	v_add_f16_e32 v44, v28, v46
	v_fma_f16 v40, v53, v76, -v40
	v_fma_f16 v42, v54, v74, -v42
	v_fmac_f16_e32 v49, v29, v53
	v_fmac_f16_e32 v50, v33, v54
	s_waitcnt vmcnt(4)
	v_mul_f16_sdwa v29, v22, v55 dst_sel:DWORD dst_unused:UNUSED_PAD src0_sel:DWORD src1_sel:WORD_1
	v_mul_f16_sdwa v33, v21, v56 dst_sel:DWORD dst_unused:UNUSED_PAD src0_sel:DWORD src1_sel:WORD_1
	;; [unrolled: 1-line block ×4, first 2 shown]
	v_fmamk_f16 v51, v43, 0xbaee, v26
	v_fmac_f16_e32 v26, 0x3aee, v43
	v_fmamk_f16 v43, v0, 0x3aee, v30
	v_fmac_f16_e32 v30, 0xbaee, v0
	v_fma_f16 v52, -0.5, v2, v59
	v_add_f16_e32 v45, v6, v45
	v_fma_f16 v28, -0.5, v7, v28
	v_add_f16_e32 v44, v44, v47
	v_add_f16_e32 v0, v40, v42
	v_sub_f16_e32 v2, v49, v50
	v_add_f16_e32 v6, v34, v40
	v_add_f16_e32 v7, v49, v50
	;; [unrolled: 1-line block ×3, first 2 shown]
	v_fma_f16 v29, v55, v77, -v29
	v_fma_f16 v33, v56, v93, -v33
	v_fmac_f16_e32 v46, v22, v55
	v_fmac_f16_e32 v48, v21, v56
	s_waitcnt vmcnt(3)
	v_mul_f16_sdwa v21, v20, v31 dst_sel:DWORD dst_unused:UNUSED_PAD src0_sel:DWORD src1_sel:WORD_1
	v_mul_f16_sdwa v22, v19, v32 dst_sel:DWORD dst_unused:UNUSED_PAD src0_sel:DWORD src1_sel:WORD_1
	;; [unrolled: 1-line block ×4, first 2 shown]
	v_add_f16_e32 v60, v35, v90
	v_sub_f16_e32 v40, v40, v42
	v_fmamk_f16 v54, v3, 0xbaee, v52
	v_fmac_f16_e32 v52, 0x3aee, v3
	v_fmamk_f16 v55, v41, 0x3aee, v28
	v_fmac_f16_e32 v28, 0xbaee, v41
	v_fma_f16 v34, -0.5, v0, v34
	v_add_f16_e32 v41, v6, v42
	v_fma_f16 v23, -0.5, v7, v23
	v_add_f16_e32 v0, v29, v33
	v_sub_f16_e32 v3, v46, v48
	v_add_f16_e32 v6, v84, v29
	v_add_f16_e32 v7, v46, v48
	;; [unrolled: 1-line block ×3, first 2 shown]
	v_fma_f16 v21, v31, v78, -v21
	v_fma_f16 v22, v32, v94, -v22
	v_fmac_f16_e32 v49, v20, v31
	v_fmac_f16_e32 v53, v19, v32
	s_waitcnt vmcnt(2)
	v_mul_f16_sdwa v19, v18, v57 dst_sel:DWORD dst_unused:UNUSED_PAD src0_sel:DWORD src1_sel:WORD_1
	v_mul_f16_sdwa v20, v16, v58 dst_sel:DWORD dst_unused:UNUSED_PAD src0_sel:DWORD src1_sel:WORD_1
	;; [unrolled: 1-line block ×4, first 2 shown]
	v_add_f16_e32 v35, v60, v98
	v_add_f16_e32 v42, v47, v50
	v_sub_f16_e32 v29, v29, v33
	v_fmamk_f16 v47, v2, 0xbaee, v34
	v_fmac_f16_e32 v34, 0x3aee, v2
	v_fmamk_f16 v50, v40, 0x3aee, v23
	v_fmac_f16_e32 v23, 0xbaee, v40
	v_fma_f16 v40, -0.5, v0, v84
	v_add_f16_e32 v6, v6, v33
	v_fma_f16 v7, -0.5, v7, v17
	v_add_f16_e32 v17, v46, v48
	v_add_f16_e32 v0, v21, v22
	v_sub_f16_e32 v2, v49, v53
	v_add_f16_e32 v33, v85, v21
	v_add_f16_e32 v46, v49, v53
	;; [unrolled: 1-line block ×3, first 2 shown]
	v_fma_f16 v19, v57, v79, -v19
	v_fma_f16 v20, v58, v95, -v20
	v_fmac_f16_e32 v31, v18, v57
	v_fmac_f16_e32 v32, v16, v58
	s_waitcnt vmcnt(1)
	v_mul_f16_sdwa v16, v15, v61 dst_sel:DWORD dst_unused:UNUSED_PAD src0_sel:DWORD src1_sel:WORD_1
	v_mul_f16_sdwa v18, v12, v62 dst_sel:DWORD dst_unused:UNUSED_PAD src0_sel:DWORD src1_sel:WORD_1
	;; [unrolled: 1-line block ×4, first 2 shown]
	s_waitcnt vmcnt(0)
	v_mul_f16_sdwa v57, v13, v4 dst_sel:DWORD dst_unused:UNUSED_PAD src0_sel:DWORD src1_sel:WORD_1
	v_mul_f16_sdwa v58, v11, v5 dst_sel:DWORD dst_unused:UNUSED_PAD src0_sel:DWORD src1_sel:WORD_1
	;; [unrolled: 1-line block ×4, first 2 shown]
	v_sub_f16_e32 v21, v21, v22
	v_fmamk_f16 v63, v3, 0xbaee, v40
	v_fmac_f16_e32 v40, 0x3aee, v3
	v_fmamk_f16 v72, v29, 0x3aee, v7
	v_fmac_f16_e32 v7, 0xbaee, v29
	v_fma_f16 v3, -0.5, v0, v85
	v_add_f16_e32 v22, v33, v22
	v_fma_f16 v14, -0.5, v46, v14
	v_add_f16_e32 v29, v48, v53
	v_sub_f16_e32 v33, v31, v32
	v_add_f16_e32 v46, v86, v19
	v_add_f16_e32 v48, v31, v32
	;; [unrolled: 1-line block ×3, first 2 shown]
	v_fma_f16 v16, v61, v80, -v16
	v_fma_f16 v18, v62, v96, -v18
	v_fmac_f16_e32 v49, v15, v61
	v_fmac_f16_e32 v56, v12, v62
	v_fma_f16 v12, v4, v81, -v57
	v_fma_f16 v15, v5, v97, -v58
	v_fmac_f16_e32 v59, v13, v4
	v_fmac_f16_e32 v60, v11, v5
	v_add_f16_e32 v0, v19, v20
	v_fmamk_f16 v4, v2, 0xbaee, v3
	v_fmac_f16_e32 v3, 0x3aee, v2
	v_fmamk_f16 v5, v21, 0x3aee, v14
	v_fmac_f16_e32 v14, 0xbaee, v21
	v_add_f16_e32 v2, v46, v20
	v_add_f16_e32 v11, v31, v32
	;; [unrolled: 1-line block ×7, first 2 shown]
	v_sub_f16_e32 v19, v19, v20
	v_fma_f16 v0, -0.5, v0, v86
	v_fma_f16 v10, -0.5, v48, v10
	v_sub_f16_e32 v20, v49, v56
	v_add_f16_e32 v32, v9, v49
	v_add_f16_e32 v49, v88, v12
	;; [unrolled: 1-line block ×3, first 2 shown]
	v_sub_f16_e32 v16, v16, v18
	v_sub_f16_e32 v48, v59, v60
	;; [unrolled: 1-line block ×3, first 2 shown]
	v_fma_f16 v13, -0.5, v13, v87
	v_add_f16_e32 v18, v21, v18
	v_fma_f16 v9, -0.5, v31, v9
	v_fma_f16 v21, -0.5, v46, v88
	;; [unrolled: 1-line block ×3, first 2 shown]
	v_fmamk_f16 v58, v33, 0xbaee, v0
	v_fmac_f16_e32 v0, 0x3aee, v33
	v_fmamk_f16 v33, v19, 0x3aee, v10
	v_fmac_f16_e32 v10, 0xbaee, v19
	v_add_f16_e32 v19, v32, v56
	v_add_f16_e32 v15, v49, v15
	;; [unrolled: 1-line block ×3, first 2 shown]
	v_pack_b32_f16 v2, v11, v2
	v_fmamk_f16 v11, v20, 0xbaee, v13
	v_fmac_f16_e32 v13, 0x3aee, v20
	v_fmamk_f16 v20, v16, 0x3aee, v9
	v_fmac_f16_e32 v9, 0xbaee, v16
	;; [unrolled: 2-line block ×4, first 2 shown]
	v_pack_b32_f16 v12, v31, v15
	v_pack_b32_f16 v15, v19, v18
	global_store_dword v[70:71], v2, off offset:112
	v_pack_b32_f16 v2, v10, v0
	v_pack_b32_f16 v0, v8, v21
	v_pack_b32_f16 v8, v32, v16
	v_pack_b32_f16 v9, v9, v13
	v_pack_b32_f16 v11, v20, v11
	global_store_dword v[24:25], v12, off offset:1080
	global_store_dword v[24:25], v15, off offset:1620
	;; [unrolled: 1-line block ×6, first 2 shown]
	v_mad_u32_u24 v0, 0xa8c, v99, v38
	v_pack_b32_f16 v10, v33, v58
	v_pack_b32_f16 v9, v14, v3
	global_store_dword v[66:67], v2, off offset:1416
	global_store_dword v[68:69], v10, off offset:672
	v_lshlrev_b64 v[2:3], 2, v[0:1]
	v_mul_hi_u32 v0, 0xc22e4507, v36
	v_pack_b32_f16 v8, v29, v22
	v_mul_hi_u32 v13, 0xc22e4507, v39
	global_store_dword v[70:71], v8, off offset:652
	global_store_dword v[66:67], v9, off offset:1956
	v_pack_b32_f16 v8, v5, v4
	v_lshrrev_b32_e32 v0, 10, v0
	v_add_co_u32 v2, vcc_lo, v91, v2
	v_add_co_ci_u32_e32 v3, vcc_lo, v92, v3, vcc_lo
	v_mad_u32_u24 v0, 0xa8c, v0, v36
	global_store_dword v[68:69], v8, off offset:1212
	v_add_co_u32 v4, vcc_lo, 0x1000, v2
	v_add_co_ci_u32_e32 v5, vcc_lo, 0, v3, vcc_lo
	v_lshlrev_b64 v[8:9], 2, v[0:1]
	v_lshrrev_b32_e32 v0, 10, v13
	v_pack_b32_f16 v10, v17, v6
	v_add_co_u32 v6, vcc_lo, 0x2800, v2
	v_pack_b32_f16 v11, v7, v40
	v_mad_u32_u24 v0, 0xa8c, v0, v39
	v_pack_b32_f16 v12, v72, v63
	v_add_co_ci_u32_e32 v7, vcc_lo, 0, v3, vcc_lo
	global_store_dword v[2:3], v10, off
	global_store_dword v[4:5], v11, off offset:1304
	global_store_dword v[6:7], v12, off offset:560
	v_lshlrev_b64 v[6:7], 2, v[0:1]
	v_mul_hi_u32 v0, 0xc22e4507, v37
	v_add_co_u32 v2, vcc_lo, v91, v8
	v_add_co_ci_u32_e32 v3, vcc_lo, v92, v9, vcc_lo
	v_pack_b32_f16 v10, v42, v41
	v_add_co_u32 v4, vcc_lo, 0x1000, v2
	v_lshrrev_b32_e32 v0, 10, v0
	v_add_co_ci_u32_e32 v5, vcc_lo, 0, v3, vcc_lo
	v_add_co_u32 v8, vcc_lo, 0x2800, v2
	v_add_co_ci_u32_e32 v9, vcc_lo, 0, v3, vcc_lo
	v_add_co_u32 v6, vcc_lo, v91, v6
	v_mad_u32_u24 v0, 0xa8c, v0, v37
	v_add_co_ci_u32_e32 v7, vcc_lo, v92, v7, vcc_lo
	v_pack_b32_f16 v11, v23, v34
	v_pack_b32_f16 v12, v50, v47
	;; [unrolled: 1-line block ×3, first 2 shown]
	global_store_dword v[2:3], v10, off
	v_add_co_u32 v2, vcc_lo, 0x1000, v6
	v_lshlrev_b64 v[0:1], 2, v[0:1]
	v_add_co_ci_u32_e32 v3, vcc_lo, 0, v7, vcc_lo
	global_store_dword v[4:5], v11, off offset:1304
	global_store_dword v[8:9], v12, off offset:560
	global_store_dword v[6:7], v13, off
	v_add_co_u32 v4, vcc_lo, 0x2800, v6
	v_add_co_ci_u32_e32 v5, vcc_lo, 0, v7, vcc_lo
	v_add_co_u32 v0, vcc_lo, v91, v0
	v_add_co_ci_u32_e32 v1, vcc_lo, v92, v1, vcc_lo
	v_pack_b32_f16 v10, v28, v52
	v_add_co_u32 v6, vcc_lo, 0x1000, v0
	v_pack_b32_f16 v11, v55, v54
	v_add_co_ci_u32_e32 v7, vcc_lo, 0, v1, vcc_lo
	v_pack_b32_f16 v12, v35, v27
	v_add_co_u32 v8, vcc_lo, 0x2800, v0
	v_pack_b32_f16 v13, v30, v26
	v_pack_b32_f16 v14, v43, v51
	v_add_co_ci_u32_e32 v9, vcc_lo, 0, v1, vcc_lo
	global_store_dword v[2:3], v10, off offset:1304
	global_store_dword v[4:5], v11, off offset:560
	global_store_dword v[0:1], v12, off
	global_store_dword v[6:7], v13, off offset:1304
	global_store_dword v[8:9], v14, off offset:560
.LBB0_13:
	s_endpgm
	.section	.rodata,"a",@progbits
	.p2align	6, 0x0
	.amdhsa_kernel fft_rtc_back_len4050_factors_10_5_3_3_3_3_wgs_135_tpt_135_halfLds_half_ip_CI_unitstride_sbrr_dirReg
		.amdhsa_group_segment_fixed_size 0
		.amdhsa_private_segment_fixed_size 0
		.amdhsa_kernarg_size 88
		.amdhsa_user_sgpr_count 6
		.amdhsa_user_sgpr_private_segment_buffer 1
		.amdhsa_user_sgpr_dispatch_ptr 0
		.amdhsa_user_sgpr_queue_ptr 0
		.amdhsa_user_sgpr_kernarg_segment_ptr 1
		.amdhsa_user_sgpr_dispatch_id 0
		.amdhsa_user_sgpr_flat_scratch_init 0
		.amdhsa_user_sgpr_private_segment_size 0
		.amdhsa_wavefront_size32 1
		.amdhsa_uses_dynamic_stack 0
		.amdhsa_system_sgpr_private_segment_wavefront_offset 0
		.amdhsa_system_sgpr_workgroup_id_x 1
		.amdhsa_system_sgpr_workgroup_id_y 0
		.amdhsa_system_sgpr_workgroup_id_z 0
		.amdhsa_system_sgpr_workgroup_info 0
		.amdhsa_system_vgpr_workitem_id 0
		.amdhsa_next_free_vgpr 127
		.amdhsa_next_free_sgpr 21
		.amdhsa_reserve_vcc 1
		.amdhsa_reserve_flat_scratch 0
		.amdhsa_float_round_mode_32 0
		.amdhsa_float_round_mode_16_64 0
		.amdhsa_float_denorm_mode_32 3
		.amdhsa_float_denorm_mode_16_64 3
		.amdhsa_dx10_clamp 1
		.amdhsa_ieee_mode 1
		.amdhsa_fp16_overflow 0
		.amdhsa_workgroup_processor_mode 1
		.amdhsa_memory_ordered 1
		.amdhsa_forward_progress 0
		.amdhsa_shared_vgpr_count 0
		.amdhsa_exception_fp_ieee_invalid_op 0
		.amdhsa_exception_fp_denorm_src 0
		.amdhsa_exception_fp_ieee_div_zero 0
		.amdhsa_exception_fp_ieee_overflow 0
		.amdhsa_exception_fp_ieee_underflow 0
		.amdhsa_exception_fp_ieee_inexact 0
		.amdhsa_exception_int_div_zero 0
	.end_amdhsa_kernel
	.text
.Lfunc_end0:
	.size	fft_rtc_back_len4050_factors_10_5_3_3_3_3_wgs_135_tpt_135_halfLds_half_ip_CI_unitstride_sbrr_dirReg, .Lfunc_end0-fft_rtc_back_len4050_factors_10_5_3_3_3_3_wgs_135_tpt_135_halfLds_half_ip_CI_unitstride_sbrr_dirReg
                                        ; -- End function
	.section	.AMDGPU.csdata,"",@progbits
; Kernel info:
; codeLenInByte = 21480
; NumSgprs: 23
; NumVgprs: 127
; ScratchSize: 0
; MemoryBound: 0
; FloatMode: 240
; IeeeMode: 1
; LDSByteSize: 0 bytes/workgroup (compile time only)
; SGPRBlocks: 2
; VGPRBlocks: 15
; NumSGPRsForWavesPerEU: 23
; NumVGPRsForWavesPerEU: 127
; Occupancy: 8
; WaveLimiterHint : 1
; COMPUTE_PGM_RSRC2:SCRATCH_EN: 0
; COMPUTE_PGM_RSRC2:USER_SGPR: 6
; COMPUTE_PGM_RSRC2:TRAP_HANDLER: 0
; COMPUTE_PGM_RSRC2:TGID_X_EN: 1
; COMPUTE_PGM_RSRC2:TGID_Y_EN: 0
; COMPUTE_PGM_RSRC2:TGID_Z_EN: 0
; COMPUTE_PGM_RSRC2:TIDIG_COMP_CNT: 0
	.text
	.p2alignl 6, 3214868480
	.fill 48, 4, 3214868480
	.type	__hip_cuid_72940905eb52dbbf,@object ; @__hip_cuid_72940905eb52dbbf
	.section	.bss,"aw",@nobits
	.globl	__hip_cuid_72940905eb52dbbf
__hip_cuid_72940905eb52dbbf:
	.byte	0                               ; 0x0
	.size	__hip_cuid_72940905eb52dbbf, 1

	.ident	"AMD clang version 19.0.0git (https://github.com/RadeonOpenCompute/llvm-project roc-6.4.0 25133 c7fe45cf4b819c5991fe208aaa96edf142730f1d)"
	.section	".note.GNU-stack","",@progbits
	.addrsig
	.addrsig_sym __hip_cuid_72940905eb52dbbf
	.amdgpu_metadata
---
amdhsa.kernels:
  - .args:
      - .actual_access:  read_only
        .address_space:  global
        .offset:         0
        .size:           8
        .value_kind:     global_buffer
      - .offset:         8
        .size:           8
        .value_kind:     by_value
      - .actual_access:  read_only
        .address_space:  global
        .offset:         16
        .size:           8
        .value_kind:     global_buffer
      - .actual_access:  read_only
        .address_space:  global
        .offset:         24
        .size:           8
        .value_kind:     global_buffer
      - .offset:         32
        .size:           8
        .value_kind:     by_value
      - .actual_access:  read_only
        .address_space:  global
        .offset:         40
        .size:           8
        .value_kind:     global_buffer
      - .actual_access:  read_only
        .address_space:  global
        .offset:         48
        .size:           8
        .value_kind:     global_buffer
      - .offset:         56
        .size:           4
        .value_kind:     by_value
      - .actual_access:  read_only
        .address_space:  global
        .offset:         64
        .size:           8
        .value_kind:     global_buffer
      - .actual_access:  read_only
        .address_space:  global
        .offset:         72
        .size:           8
        .value_kind:     global_buffer
      - .address_space:  global
        .offset:         80
        .size:           8
        .value_kind:     global_buffer
    .group_segment_fixed_size: 0
    .kernarg_segment_align: 8
    .kernarg_segment_size: 88
    .language:       OpenCL C
    .language_version:
      - 2
      - 0
    .max_flat_workgroup_size: 135
    .name:           fft_rtc_back_len4050_factors_10_5_3_3_3_3_wgs_135_tpt_135_halfLds_half_ip_CI_unitstride_sbrr_dirReg
    .private_segment_fixed_size: 0
    .sgpr_count:     23
    .sgpr_spill_count: 0
    .symbol:         fft_rtc_back_len4050_factors_10_5_3_3_3_3_wgs_135_tpt_135_halfLds_half_ip_CI_unitstride_sbrr_dirReg.kd
    .uniform_work_group_size: 1
    .uses_dynamic_stack: false
    .vgpr_count:     127
    .vgpr_spill_count: 0
    .wavefront_size: 32
    .workgroup_processor_mode: 1
amdhsa.target:   amdgcn-amd-amdhsa--gfx1030
amdhsa.version:
  - 1
  - 2
...

	.end_amdgpu_metadata
